;; amdgpu-corpus repo=zjin-lcf/HeCBench kind=compiled arch=gfx906 opt=O3
	.amdgcn_target "amdgcn-amd-amdhsa--gfx906"
	.amdhsa_code_object_version 6
	.text
	.protected	_Z9ccc_loop1PKiS0_PKdS2_S2_S2_PdiiPi ; -- Begin function _Z9ccc_loop1PKiS0_PKdS2_S2_S2_PdiiPi
	.globl	_Z9ccc_loop1PKiS0_PKdS2_S2_S2_PdiiPi
	.p2align	8
	.type	_Z9ccc_loop1PKiS0_PKdS2_S2_S2_PdiiPi,@function
_Z9ccc_loop1PKiS0_PKdS2_S2_S2_PdiiPi:   ; @_Z9ccc_loop1PKiS0_PKdS2_S2_S2_PdiiPi
; %bb.0:
	s_load_dword s0, s[4:5], 0x54
	s_load_dwordx2 s[2:3], s[4:5], 0x38
	s_waitcnt lgkmcnt(0)
	s_lshr_b32 s1, s0, 16
	s_and_b32 s0, s0, 0xffff
	s_mul_i32 s6, s6, s0
	s_mul_i32 s7, s7, s1
	v_add_u32_e32 v0, s6, v0
	v_add_u32_e32 v1, s7, v1
	v_cmp_gt_i32_e32 vcc, s2, v0
	v_cmp_gt_i32_e64 s[0:1], s3, v1
	s_and_b64 s[0:1], vcc, s[0:1]
	s_and_saveexec_b64 s[6:7], s[0:1]
	s_cbranch_execz .LBB0_2
; %bb.1:
	v_mad_u64_u32 v[0:1], s[0:1], v1, s2, v[0:1]
	s_load_dwordx2 s[6:7], s[4:5], 0x10
	s_load_dwordx4 s[0:3], s[4:5], 0x28
	v_ashrrev_i32_e32 v1, 31, v0
	v_lshlrev_b64 v[0:1], 3, v[0:1]
	s_waitcnt lgkmcnt(0)
	v_mov_b32_e32 v3, s7
	v_add_co_u32_e32 v2, vcc, s6, v0
	v_addc_co_u32_e32 v3, vcc, v3, v1, vcc
	v_mov_b32_e32 v5, s1
	v_add_co_u32_e32 v4, vcc, s0, v0
	v_addc_co_u32_e32 v5, vcc, v5, v1, vcc
	global_load_dwordx2 v[2:3], v[2:3], off
	s_nop 0
	global_load_dwordx2 v[4:5], v[4:5], off
	s_waitcnt vmcnt(0)
	v_div_scale_f64 v[6:7], s[0:1], v[4:5], v[4:5], v[2:3]
	v_div_scale_f64 v[12:13], vcc, v[2:3], v[4:5], v[2:3]
	v_rcp_f64_e32 v[8:9], v[6:7]
	v_fma_f64 v[10:11], -v[6:7], v[8:9], 1.0
	v_fma_f64 v[8:9], v[8:9], v[10:11], v[8:9]
	v_fma_f64 v[10:11], -v[6:7], v[8:9], 1.0
	v_fma_f64 v[8:9], v[8:9], v[10:11], v[8:9]
	v_mul_f64 v[10:11], v[12:13], v[8:9]
	v_fma_f64 v[6:7], -v[6:7], v[10:11], v[12:13]
	v_div_fmas_f64 v[6:7], v[6:7], v[8:9], v[10:11]
	v_add_co_u32_e32 v0, vcc, s2, v0
	v_div_fixup_f64 v[2:3], v[6:7], v[4:5], v[2:3]
	v_mov_b32_e32 v4, s3
	v_addc_co_u32_e32 v1, vcc, v4, v1, vcc
	global_store_dwordx2 v[0:1], v[2:3], off
.LBB0_2:
	s_endpgm
	.section	.rodata,"a",@progbits
	.p2align	6, 0x0
	.amdhsa_kernel _Z9ccc_loop1PKiS0_PKdS2_S2_S2_PdiiPi
		.amdhsa_group_segment_fixed_size 0
		.amdhsa_private_segment_fixed_size 0
		.amdhsa_kernarg_size 328
		.amdhsa_user_sgpr_count 6
		.amdhsa_user_sgpr_private_segment_buffer 1
		.amdhsa_user_sgpr_dispatch_ptr 0
		.amdhsa_user_sgpr_queue_ptr 0
		.amdhsa_user_sgpr_kernarg_segment_ptr 1
		.amdhsa_user_sgpr_dispatch_id 0
		.amdhsa_user_sgpr_flat_scratch_init 0
		.amdhsa_user_sgpr_private_segment_size 0
		.amdhsa_uses_dynamic_stack 0
		.amdhsa_system_sgpr_private_segment_wavefront_offset 0
		.amdhsa_system_sgpr_workgroup_id_x 1
		.amdhsa_system_sgpr_workgroup_id_y 1
		.amdhsa_system_sgpr_workgroup_id_z 0
		.amdhsa_system_sgpr_workgroup_info 0
		.amdhsa_system_vgpr_workitem_id 1
		.amdhsa_next_free_vgpr 14
		.amdhsa_next_free_sgpr 8
		.amdhsa_reserve_vcc 1
		.amdhsa_reserve_flat_scratch 0
		.amdhsa_float_round_mode_32 0
		.amdhsa_float_round_mode_16_64 0
		.amdhsa_float_denorm_mode_32 3
		.amdhsa_float_denorm_mode_16_64 3
		.amdhsa_dx10_clamp 1
		.amdhsa_ieee_mode 1
		.amdhsa_fp16_overflow 0
		.amdhsa_exception_fp_ieee_invalid_op 0
		.amdhsa_exception_fp_denorm_src 0
		.amdhsa_exception_fp_ieee_div_zero 0
		.amdhsa_exception_fp_ieee_overflow 0
		.amdhsa_exception_fp_ieee_underflow 0
		.amdhsa_exception_fp_ieee_inexact 0
		.amdhsa_exception_int_div_zero 0
	.end_amdhsa_kernel
	.text
.Lfunc_end0:
	.size	_Z9ccc_loop1PKiS0_PKdS2_S2_S2_PdiiPi, .Lfunc_end0-_Z9ccc_loop1PKiS0_PKdS2_S2_S2_PdiiPi
                                        ; -- End function
	.set _Z9ccc_loop1PKiS0_PKdS2_S2_S2_PdiiPi.num_vgpr, 14
	.set _Z9ccc_loop1PKiS0_PKdS2_S2_S2_PdiiPi.num_agpr, 0
	.set _Z9ccc_loop1PKiS0_PKdS2_S2_S2_PdiiPi.numbered_sgpr, 8
	.set _Z9ccc_loop1PKiS0_PKdS2_S2_S2_PdiiPi.num_named_barrier, 0
	.set _Z9ccc_loop1PKiS0_PKdS2_S2_S2_PdiiPi.private_seg_size, 0
	.set _Z9ccc_loop1PKiS0_PKdS2_S2_S2_PdiiPi.uses_vcc, 1
	.set _Z9ccc_loop1PKiS0_PKdS2_S2_S2_PdiiPi.uses_flat_scratch, 0
	.set _Z9ccc_loop1PKiS0_PKdS2_S2_S2_PdiiPi.has_dyn_sized_stack, 0
	.set _Z9ccc_loop1PKiS0_PKdS2_S2_S2_PdiiPi.has_recursion, 0
	.set _Z9ccc_loop1PKiS0_PKdS2_S2_S2_PdiiPi.has_indirect_call, 0
	.section	.AMDGPU.csdata,"",@progbits
; Kernel info:
; codeLenInByte = 268
; TotalNumSgprs: 12
; NumVgprs: 14
; ScratchSize: 0
; MemoryBound: 0
; FloatMode: 240
; IeeeMode: 1
; LDSByteSize: 0 bytes/workgroup (compile time only)
; SGPRBlocks: 1
; VGPRBlocks: 3
; NumSGPRsForWavesPerEU: 12
; NumVGPRsForWavesPerEU: 14
; Occupancy: 10
; WaveLimiterHint : 0
; COMPUTE_PGM_RSRC2:SCRATCH_EN: 0
; COMPUTE_PGM_RSRC2:USER_SGPR: 6
; COMPUTE_PGM_RSRC2:TRAP_HANDLER: 0
; COMPUTE_PGM_RSRC2:TGID_X_EN: 1
; COMPUTE_PGM_RSRC2:TGID_Y_EN: 1
; COMPUTE_PGM_RSRC2:TGID_Z_EN: 0
; COMPUTE_PGM_RSRC2:TIDIG_COMP_CNT: 1
	.text
	.protected	_Z11ccc_loop1_2PKdS0_S0_PdPKiiS3_S3_ii ; -- Begin function _Z11ccc_loop1_2PKdS0_S0_PdPKiiS3_S3_ii
	.globl	_Z11ccc_loop1_2PKdS0_S0_PdPKiiS3_S3_ii
	.p2align	8
	.type	_Z11ccc_loop1_2PKdS0_S0_PdPKiiS3_S3_ii,@function
_Z11ccc_loop1_2PKdS0_S0_PdPKiiS3_S3_ii: ; @_Z11ccc_loop1_2PKdS0_S0_PdPKiiS3_S3_ii
; %bb.0:
	s_load_dword s0, s[4:5], 0x54
	s_load_dword s1, s[4:5], 0x28
	s_waitcnt lgkmcnt(0)
	s_and_b32 s0, s0, 0xffff
	s_mul_i32 s6, s6, s0
	v_add_u32_e32 v0, s6, v0
	v_cmp_gt_i32_e32 vcc, s1, v0
	s_and_saveexec_b64 s[0:1], vcc
	s_cbranch_execz .LBB1_6
; %bb.1:
	s_load_dwordx2 s[0:1], s[4:5], 0x20
	v_ashrrev_i32_e32 v1, 31, v0
	v_lshlrev_b64 v[0:1], 2, v[0:1]
	s_waitcnt lgkmcnt(0)
	v_mov_b32_e32 v3, s1
	v_add_co_u32_e32 v2, vcc, s0, v0
	v_addc_co_u32_e32 v3, vcc, v3, v1, vcc
	global_load_dwordx2 v[4:5], v[2:3], off
	s_load_dwordx4 s[8:11], s[4:5], 0x10
	s_load_dwordx4 s[12:15], s[4:5], 0x30
	v_mov_b32_e32 v2, 0
	v_mov_b32_e32 v3, 0
	s_waitcnt vmcnt(0)
	v_cmp_lt_i32_e32 vcc, v4, v5
	s_and_saveexec_b64 s[2:3], vcc
	s_cbranch_execz .LBB1_5
; %bb.2:
	s_load_dwordx4 s[16:19], s[4:5], 0x0
	v_ashrrev_i32_e32 v3, 31, v4
	v_mov_b32_e32 v2, v4
	v_lshlrev_b64 v[2:3], 3, v[2:3]
	s_mov_b64 s[6:7], 0
	s_waitcnt lgkmcnt(0)
	v_mov_b32_e32 v7, s17
	v_add_co_u32_e32 v6, vcc, s16, v2
	v_addc_co_u32_e32 v7, vcc, v7, v3, vcc
	v_mov_b32_e32 v9, s19
	v_add_co_u32_e32 v8, vcc, s18, v2
	v_addc_co_u32_e32 v9, vcc, v9, v3, vcc
	v_mov_b32_e32 v2, 0
	v_mov_b32_e32 v3, 0
.LBB1_3:                                ; =>This Inner Loop Header: Depth=1
	global_load_dwordx2 v[10:11], v[6:7], off
	global_load_dwordx2 v[12:13], v[8:9], off
	v_add_co_u32_e32 v6, vcc, 8, v6
	v_add_u32_e32 v4, 1, v4
	v_addc_co_u32_e32 v7, vcc, 0, v7, vcc
	v_add_co_u32_e32 v8, vcc, 8, v8
	v_cmp_ge_i32_e64 s[0:1], v4, v5
	s_or_b64 s[6:7], s[0:1], s[6:7]
	v_addc_co_u32_e32 v9, vcc, 0, v9, vcc
	s_waitcnt vmcnt(0)
	v_fma_f64 v[2:3], v[10:11], v[12:13], v[2:3]
	s_andn2_b64 exec, exec, s[6:7]
	s_cbranch_execnz .LBB1_3
; %bb.4:
	s_or_b64 exec, exec, s[6:7]
.LBB1_5:
	s_or_b64 exec, exec, s[2:3]
	s_waitcnt lgkmcnt(0)
	v_mov_b32_e32 v5, s13
	v_add_co_u32_e32 v4, vcc, s12, v0
	v_addc_co_u32_e32 v5, vcc, v5, v1, vcc
	global_load_dword v4, v[4:5], off
	v_mov_b32_e32 v5, s15
	v_add_co_u32_e32 v0, vcc, s14, v0
	v_addc_co_u32_e32 v1, vcc, v5, v1, vcc
	global_load_dword v0, v[0:1], off
	s_load_dword s0, s[4:5], 0x40
	s_waitcnt vmcnt(0) lgkmcnt(0)
	v_mad_u64_u32 v[0:1], s[0:1], v0, s0, v[4:5]
	v_mov_b32_e32 v5, s9
	v_ashrrev_i32_e32 v1, 31, v0
	v_lshlrev_b64 v[0:1], 3, v[0:1]
	v_add_co_u32_e32 v4, vcc, s8, v0
	v_addc_co_u32_e32 v5, vcc, v5, v1, vcc
	global_load_dwordx2 v[4:5], v[4:5], off
	s_waitcnt vmcnt(0)
	v_div_scale_f64 v[6:7], s[0:1], v[4:5], v[4:5], v[2:3]
	v_div_scale_f64 v[12:13], vcc, v[2:3], v[4:5], v[2:3]
	v_rcp_f64_e32 v[8:9], v[6:7]
	v_fma_f64 v[10:11], -v[6:7], v[8:9], 1.0
	v_fma_f64 v[8:9], v[8:9], v[10:11], v[8:9]
	v_fma_f64 v[10:11], -v[6:7], v[8:9], 1.0
	v_fma_f64 v[8:9], v[8:9], v[10:11], v[8:9]
	v_mul_f64 v[10:11], v[12:13], v[8:9]
	v_fma_f64 v[6:7], -v[6:7], v[10:11], v[12:13]
	v_div_fmas_f64 v[6:7], v[6:7], v[8:9], v[10:11]
	v_add_co_u32_e32 v0, vcc, s10, v0
	v_div_fixup_f64 v[2:3], v[6:7], v[4:5], v[2:3]
	v_mov_b32_e32 v4, s11
	v_addc_co_u32_e32 v1, vcc, v4, v1, vcc
	global_store_dwordx2 v[0:1], v[2:3], off
.LBB1_6:
	s_endpgm
	.section	.rodata,"a",@progbits
	.p2align	6, 0x0
	.amdhsa_kernel _Z11ccc_loop1_2PKdS0_S0_PdPKiiS3_S3_ii
		.amdhsa_group_segment_fixed_size 0
		.amdhsa_private_segment_fixed_size 0
		.amdhsa_kernarg_size 328
		.amdhsa_user_sgpr_count 6
		.amdhsa_user_sgpr_private_segment_buffer 1
		.amdhsa_user_sgpr_dispatch_ptr 0
		.amdhsa_user_sgpr_queue_ptr 0
		.amdhsa_user_sgpr_kernarg_segment_ptr 1
		.amdhsa_user_sgpr_dispatch_id 0
		.amdhsa_user_sgpr_flat_scratch_init 0
		.amdhsa_user_sgpr_private_segment_size 0
		.amdhsa_uses_dynamic_stack 0
		.amdhsa_system_sgpr_private_segment_wavefront_offset 0
		.amdhsa_system_sgpr_workgroup_id_x 1
		.amdhsa_system_sgpr_workgroup_id_y 0
		.amdhsa_system_sgpr_workgroup_id_z 0
		.amdhsa_system_sgpr_workgroup_info 0
		.amdhsa_system_vgpr_workitem_id 0
		.amdhsa_next_free_vgpr 14
		.amdhsa_next_free_sgpr 20
		.amdhsa_reserve_vcc 1
		.amdhsa_reserve_flat_scratch 0
		.amdhsa_float_round_mode_32 0
		.amdhsa_float_round_mode_16_64 0
		.amdhsa_float_denorm_mode_32 3
		.amdhsa_float_denorm_mode_16_64 3
		.amdhsa_dx10_clamp 1
		.amdhsa_ieee_mode 1
		.amdhsa_fp16_overflow 0
		.amdhsa_exception_fp_ieee_invalid_op 0
		.amdhsa_exception_fp_denorm_src 0
		.amdhsa_exception_fp_ieee_div_zero 0
		.amdhsa_exception_fp_ieee_overflow 0
		.amdhsa_exception_fp_ieee_underflow 0
		.amdhsa_exception_fp_ieee_inexact 0
		.amdhsa_exception_int_div_zero 0
	.end_amdhsa_kernel
	.text
.Lfunc_end1:
	.size	_Z11ccc_loop1_2PKdS0_S0_PdPKiiS3_S3_ii, .Lfunc_end1-_Z11ccc_loop1_2PKdS0_S0_PdPKiiS3_S3_ii
                                        ; -- End function
	.set _Z11ccc_loop1_2PKdS0_S0_PdPKiiS3_S3_ii.num_vgpr, 14
	.set _Z11ccc_loop1_2PKdS0_S0_PdPKiiS3_S3_ii.num_agpr, 0
	.set _Z11ccc_loop1_2PKdS0_S0_PdPKiiS3_S3_ii.numbered_sgpr, 20
	.set _Z11ccc_loop1_2PKdS0_S0_PdPKiiS3_S3_ii.num_named_barrier, 0
	.set _Z11ccc_loop1_2PKdS0_S0_PdPKiiS3_S3_ii.private_seg_size, 0
	.set _Z11ccc_loop1_2PKdS0_S0_PdPKiiS3_S3_ii.uses_vcc, 1
	.set _Z11ccc_loop1_2PKdS0_S0_PdPKiiS3_S3_ii.uses_flat_scratch, 0
	.set _Z11ccc_loop1_2PKdS0_S0_PdPKiiS3_S3_ii.has_dyn_sized_stack, 0
	.set _Z11ccc_loop1_2PKdS0_S0_PdPKiiS3_S3_ii.has_recursion, 0
	.set _Z11ccc_loop1_2PKdS0_S0_PdPKiiS3_S3_ii.has_indirect_call, 0
	.section	.AMDGPU.csdata,"",@progbits
; Kernel info:
; codeLenInByte = 480
; TotalNumSgprs: 24
; NumVgprs: 14
; ScratchSize: 0
; MemoryBound: 0
; FloatMode: 240
; IeeeMode: 1
; LDSByteSize: 0 bytes/workgroup (compile time only)
; SGPRBlocks: 2
; VGPRBlocks: 3
; NumSGPRsForWavesPerEU: 24
; NumVGPRsForWavesPerEU: 14
; Occupancy: 10
; WaveLimiterHint : 1
; COMPUTE_PGM_RSRC2:SCRATCH_EN: 0
; COMPUTE_PGM_RSRC2:USER_SGPR: 6
; COMPUTE_PGM_RSRC2:TRAP_HANDLER: 0
; COMPUTE_PGM_RSRC2:TGID_X_EN: 1
; COMPUTE_PGM_RSRC2:TGID_Y_EN: 0
; COMPUTE_PGM_RSRC2:TGID_Z_EN: 0
; COMPUTE_PGM_RSRC2:TIDIG_COMP_CNT: 0
	.text
	.protected	_Z9ccc_loop2PKiS0_S0_PKdS2_S2_S2_S2_S2_PdS3_iiPi ; -- Begin function _Z9ccc_loop2PKiS0_S0_PKdS2_S2_S2_S2_S2_PdS3_iiPi
	.globl	_Z9ccc_loop2PKiS0_S0_PKdS2_S2_S2_S2_S2_PdS3_iiPi
	.p2align	8
	.type	_Z9ccc_loop2PKiS0_S0_PKdS2_S2_S2_S2_S2_PdS3_iiPi,@function
_Z9ccc_loop2PKiS0_S0_PKdS2_S2_S2_S2_S2_PdS3_iiPi: ; @_Z9ccc_loop2PKiS0_S0_PKdS2_S2_S2_S2_S2_PdS3_iiPi
; %bb.0:
	s_load_dword s0, s[4:5], 0x74
	s_load_dwordx2 s[2:3], s[4:5], 0x58
	s_waitcnt lgkmcnt(0)
	s_lshr_b32 s1, s0, 16
	s_and_b32 s0, s0, 0xffff
	s_mul_i32 s6, s6, s0
	s_mul_i32 s7, s7, s1
	v_add_u32_e32 v0, s6, v0
	v_add_u32_e32 v1, s7, v1
	v_cmp_gt_i32_e32 vcc, s2, v0
	v_cmp_gt_i32_e64 s[0:1], s3, v1
	s_and_b64 s[0:1], vcc, s[0:1]
	s_and_saveexec_b64 s[6:7], s[0:1]
	s_cbranch_execz .LBB2_3
; %bb.1:
	v_mad_u64_u32 v[0:1], s[0:1], v1, s2, v[0:1]
	s_load_dwordx2 s[0:1], s[4:5], 0x0
	v_ashrrev_i32_e32 v1, 31, v0
	v_lshlrev_b64 v[2:3], 2, v[0:1]
	s_waitcnt lgkmcnt(0)
	v_mov_b32_e32 v4, s1
	v_add_co_u32_e32 v2, vcc, s0, v2
	v_addc_co_u32_e32 v3, vcc, v4, v3, vcc
	global_load_dword v2, v[2:3], off
	s_waitcnt vmcnt(0)
	v_cmp_lt_i32_e32 vcc, 0, v2
	s_and_b64 exec, exec, vcc
	s_cbranch_execz .LBB2_3
; %bb.2:
	s_load_dwordx4 s[0:3], s[4:5], 0x40
	s_load_dwordx2 s[6:7], s[4:5], 0x18
	s_load_dwordx2 s[8:9], s[4:5], 0x28
	v_mov_b32_e32 v3, 0
	v_lshlrev_b64 v[2:3], 3, v[2:3]
	s_waitcnt lgkmcnt(0)
	v_mov_b32_e32 v4, s1
	v_add_co_u32_e32 v2, vcc, s0, v2
	v_lshlrev_b64 v[0:1], 3, v[0:1]
	v_addc_co_u32_e32 v3, vcc, v4, v3, vcc
	v_mov_b32_e32 v5, s7
	v_add_co_u32_e32 v4, vcc, s6, v0
	v_addc_co_u32_e32 v5, vcc, v5, v1, vcc
	global_load_dwordx2 v[2:3], v[2:3], off offset:-8
	v_mov_b32_e32 v7, s9
	global_load_dwordx2 v[4:5], v[4:5], off
	v_add_co_u32_e32 v6, vcc, s8, v0
	v_addc_co_u32_e32 v7, vcc, v7, v1, vcc
	global_load_dwordx2 v[6:7], v[6:7], off
	v_add_co_u32_e32 v0, vcc, s2, v0
	s_waitcnt vmcnt(1)
	v_mul_f64 v[2:3], v[2:3], v[4:5]
	v_mov_b32_e32 v4, s3
	v_addc_co_u32_e32 v1, vcc, v4, v1, vcc
	s_waitcnt vmcnt(0)
	v_mul_f64 v[2:3], v[2:3], v[6:7]
	global_store_dwordx2 v[0:1], v[2:3], off
.LBB2_3:
	s_endpgm
	.section	.rodata,"a",@progbits
	.p2align	6, 0x0
	.amdhsa_kernel _Z9ccc_loop2PKiS0_S0_PKdS2_S2_S2_S2_S2_PdS3_iiPi
		.amdhsa_group_segment_fixed_size 0
		.amdhsa_private_segment_fixed_size 0
		.amdhsa_kernarg_size 360
		.amdhsa_user_sgpr_count 6
		.amdhsa_user_sgpr_private_segment_buffer 1
		.amdhsa_user_sgpr_dispatch_ptr 0
		.amdhsa_user_sgpr_queue_ptr 0
		.amdhsa_user_sgpr_kernarg_segment_ptr 1
		.amdhsa_user_sgpr_dispatch_id 0
		.amdhsa_user_sgpr_flat_scratch_init 0
		.amdhsa_user_sgpr_private_segment_size 0
		.amdhsa_uses_dynamic_stack 0
		.amdhsa_system_sgpr_private_segment_wavefront_offset 0
		.amdhsa_system_sgpr_workgroup_id_x 1
		.amdhsa_system_sgpr_workgroup_id_y 1
		.amdhsa_system_sgpr_workgroup_id_z 0
		.amdhsa_system_sgpr_workgroup_info 0
		.amdhsa_system_vgpr_workitem_id 1
		.amdhsa_next_free_vgpr 8
		.amdhsa_next_free_sgpr 10
		.amdhsa_reserve_vcc 1
		.amdhsa_reserve_flat_scratch 0
		.amdhsa_float_round_mode_32 0
		.amdhsa_float_round_mode_16_64 0
		.amdhsa_float_denorm_mode_32 3
		.amdhsa_float_denorm_mode_16_64 3
		.amdhsa_dx10_clamp 1
		.amdhsa_ieee_mode 1
		.amdhsa_fp16_overflow 0
		.amdhsa_exception_fp_ieee_invalid_op 0
		.amdhsa_exception_fp_denorm_src 0
		.amdhsa_exception_fp_ieee_div_zero 0
		.amdhsa_exception_fp_ieee_overflow 0
		.amdhsa_exception_fp_ieee_underflow 0
		.amdhsa_exception_fp_ieee_inexact 0
		.amdhsa_exception_int_div_zero 0
	.end_amdhsa_kernel
	.text
.Lfunc_end2:
	.size	_Z9ccc_loop2PKiS0_S0_PKdS2_S2_S2_S2_S2_PdS3_iiPi, .Lfunc_end2-_Z9ccc_loop2PKiS0_S0_PKdS2_S2_S2_S2_S2_PdS3_iiPi
                                        ; -- End function
	.set _Z9ccc_loop2PKiS0_S0_PKdS2_S2_S2_S2_S2_PdS3_iiPi.num_vgpr, 8
	.set _Z9ccc_loop2PKiS0_S0_PKdS2_S2_S2_S2_S2_PdS3_iiPi.num_agpr, 0
	.set _Z9ccc_loop2PKiS0_S0_PKdS2_S2_S2_S2_S2_PdS3_iiPi.numbered_sgpr, 10
	.set _Z9ccc_loop2PKiS0_S0_PKdS2_S2_S2_S2_S2_PdS3_iiPi.num_named_barrier, 0
	.set _Z9ccc_loop2PKiS0_S0_PKdS2_S2_S2_S2_S2_PdS3_iiPi.private_seg_size, 0
	.set _Z9ccc_loop2PKiS0_S0_PKdS2_S2_S2_S2_S2_PdS3_iiPi.uses_vcc, 1
	.set _Z9ccc_loop2PKiS0_S0_PKdS2_S2_S2_S2_S2_PdS3_iiPi.uses_flat_scratch, 0
	.set _Z9ccc_loop2PKiS0_S0_PKdS2_S2_S2_S2_S2_PdS3_iiPi.has_dyn_sized_stack, 0
	.set _Z9ccc_loop2PKiS0_S0_PKdS2_S2_S2_S2_S2_PdS3_iiPi.has_recursion, 0
	.set _Z9ccc_loop2PKiS0_S0_PKdS2_S2_S2_S2_S2_PdS3_iiPi.has_indirect_call, 0
	.section	.AMDGPU.csdata,"",@progbits
; Kernel info:
; codeLenInByte = 296
; TotalNumSgprs: 14
; NumVgprs: 8
; ScratchSize: 0
; MemoryBound: 0
; FloatMode: 240
; IeeeMode: 1
; LDSByteSize: 0 bytes/workgroup (compile time only)
; SGPRBlocks: 1
; VGPRBlocks: 1
; NumSGPRsForWavesPerEU: 14
; NumVGPRsForWavesPerEU: 8
; Occupancy: 10
; WaveLimiterHint : 1
; COMPUTE_PGM_RSRC2:SCRATCH_EN: 0
; COMPUTE_PGM_RSRC2:USER_SGPR: 6
; COMPUTE_PGM_RSRC2:TRAP_HANDLER: 0
; COMPUTE_PGM_RSRC2:TGID_X_EN: 1
; COMPUTE_PGM_RSRC2:TGID_Y_EN: 1
; COMPUTE_PGM_RSRC2:TGID_Z_EN: 0
; COMPUTE_PGM_RSRC2:TIDIG_COMP_CNT: 1
	.text
	.protected	_Z11ccc_loop2_2PKiPKdS2_S2_S2_PdPii ; -- Begin function _Z11ccc_loop2_2PKiPKdS2_S2_S2_PdPii
	.globl	_Z11ccc_loop2_2PKiPKdS2_S2_S2_PdPii
	.p2align	8
	.type	_Z11ccc_loop2_2PKiPKdS2_S2_S2_PdPii,@function
_Z11ccc_loop2_2PKiPKdS2_S2_S2_PdPii:    ; @_Z11ccc_loop2_2PKiPKdS2_S2_S2_PdPii
; %bb.0:
	s_load_dword s0, s[4:5], 0x4c
	s_load_dword s1, s[4:5], 0x38
	s_waitcnt lgkmcnt(0)
	s_and_b32 s0, s0, 0xffff
	s_mul_i32 s6, s6, s0
	v_add_u32_e32 v0, s6, v0
	v_cmp_gt_i32_e32 vcc, s1, v0
	s_and_saveexec_b64 s[0:1], vcc
	s_cbranch_execz .LBB3_2
; %bb.1:
	s_load_dwordx8 s[8:15], s[4:5], 0x0
	v_ashrrev_i32_e32 v1, 31, v0
	v_lshlrev_b64 v[2:3], 2, v[0:1]
	v_lshlrev_b64 v[0:1], 3, v[0:1]
	s_load_dwordx4 s[0:3], s[4:5], 0x20
	s_waitcnt lgkmcnt(0)
	v_mov_b32_e32 v4, s9
	v_add_co_u32_e32 v2, vcc, s8, v2
	v_addc_co_u32_e32 v3, vcc, v4, v3, vcc
	global_load_dword v2, v[2:3], off
	v_mov_b32_e32 v4, s11
	v_add_co_u32_e32 v3, vcc, s10, v0
	v_addc_co_u32_e32 v4, vcc, v4, v1, vcc
	global_load_dwordx2 v[4:5], v[3:4], off
	v_mov_b32_e32 v6, s1
	v_mov_b32_e32 v7, s13
	;; [unrolled: 1-line block ×3, first 2 shown]
	s_waitcnt vmcnt(1)
	v_ashrrev_i32_e32 v3, 31, v2
	v_lshlrev_b64 v[2:3], 3, v[2:3]
	v_add_co_u32_e32 v2, vcc, s0, v2
	v_addc_co_u32_e32 v3, vcc, v6, v3, vcc
	global_load_dwordx2 v[2:3], v[2:3], off
	v_add_co_u32_e32 v6, vcc, s12, v0
	v_addc_co_u32_e32 v7, vcc, v7, v1, vcc
	global_load_dwordx2 v[6:7], v[6:7], off
	;; [unrolled: 3-line block ×3, first 2 shown]
	s_waitcnt vmcnt(2)
	v_mul_f64 v[2:3], v[2:3], v[4:5]
	s_waitcnt vmcnt(1)
	v_mul_f64 v[2:3], v[2:3], v[6:7]
	s_waitcnt vmcnt(0)
	v_div_scale_f64 v[4:5], s[0:1], v[8:9], v[8:9], v[2:3]
	v_div_scale_f64 v[12:13], vcc, v[2:3], v[8:9], v[2:3]
	v_rcp_f64_e32 v[6:7], v[4:5]
	v_fma_f64 v[10:11], -v[4:5], v[6:7], 1.0
	v_fma_f64 v[6:7], v[6:7], v[10:11], v[6:7]
	v_fma_f64 v[10:11], -v[4:5], v[6:7], 1.0
	v_fma_f64 v[6:7], v[6:7], v[10:11], v[6:7]
	v_mul_f64 v[10:11], v[12:13], v[6:7]
	v_fma_f64 v[4:5], -v[4:5], v[10:11], v[12:13]
	v_div_fmas_f64 v[4:5], v[4:5], v[6:7], v[10:11]
	v_add_co_u32_e32 v0, vcc, s2, v0
	v_div_fixup_f64 v[2:3], v[4:5], v[8:9], v[2:3]
	v_mov_b32_e32 v4, s3
	v_addc_co_u32_e32 v1, vcc, v4, v1, vcc
	global_store_dwordx2 v[0:1], v[2:3], off
.LBB3_2:
	s_endpgm
	.section	.rodata,"a",@progbits
	.p2align	6, 0x0
	.amdhsa_kernel _Z11ccc_loop2_2PKiPKdS2_S2_S2_PdPii
		.amdhsa_group_segment_fixed_size 0
		.amdhsa_private_segment_fixed_size 0
		.amdhsa_kernarg_size 320
		.amdhsa_user_sgpr_count 6
		.amdhsa_user_sgpr_private_segment_buffer 1
		.amdhsa_user_sgpr_dispatch_ptr 0
		.amdhsa_user_sgpr_queue_ptr 0
		.amdhsa_user_sgpr_kernarg_segment_ptr 1
		.amdhsa_user_sgpr_dispatch_id 0
		.amdhsa_user_sgpr_flat_scratch_init 0
		.amdhsa_user_sgpr_private_segment_size 0
		.amdhsa_uses_dynamic_stack 0
		.amdhsa_system_sgpr_private_segment_wavefront_offset 0
		.amdhsa_system_sgpr_workgroup_id_x 1
		.amdhsa_system_sgpr_workgroup_id_y 0
		.amdhsa_system_sgpr_workgroup_id_z 0
		.amdhsa_system_sgpr_workgroup_info 0
		.amdhsa_system_vgpr_workitem_id 0
		.amdhsa_next_free_vgpr 14
		.amdhsa_next_free_sgpr 16
		.amdhsa_reserve_vcc 1
		.amdhsa_reserve_flat_scratch 0
		.amdhsa_float_round_mode_32 0
		.amdhsa_float_round_mode_16_64 0
		.amdhsa_float_denorm_mode_32 3
		.amdhsa_float_denorm_mode_16_64 3
		.amdhsa_dx10_clamp 1
		.amdhsa_ieee_mode 1
		.amdhsa_fp16_overflow 0
		.amdhsa_exception_fp_ieee_invalid_op 0
		.amdhsa_exception_fp_denorm_src 0
		.amdhsa_exception_fp_ieee_div_zero 0
		.amdhsa_exception_fp_ieee_overflow 0
		.amdhsa_exception_fp_ieee_underflow 0
		.amdhsa_exception_fp_ieee_inexact 0
		.amdhsa_exception_int_div_zero 0
	.end_amdhsa_kernel
	.text
.Lfunc_end3:
	.size	_Z11ccc_loop2_2PKiPKdS2_S2_S2_PdPii, .Lfunc_end3-_Z11ccc_loop2_2PKiPKdS2_S2_S2_PdPii
                                        ; -- End function
	.set _Z11ccc_loop2_2PKiPKdS2_S2_S2_PdPii.num_vgpr, 14
	.set _Z11ccc_loop2_2PKiPKdS2_S2_S2_PdPii.num_agpr, 0
	.set _Z11ccc_loop2_2PKiPKdS2_S2_S2_PdPii.numbered_sgpr, 16
	.set _Z11ccc_loop2_2PKiPKdS2_S2_S2_PdPii.num_named_barrier, 0
	.set _Z11ccc_loop2_2PKiPKdS2_S2_S2_PdPii.private_seg_size, 0
	.set _Z11ccc_loop2_2PKiPKdS2_S2_S2_PdPii.uses_vcc, 1
	.set _Z11ccc_loop2_2PKiPKdS2_S2_S2_PdPii.uses_flat_scratch, 0
	.set _Z11ccc_loop2_2PKiPKdS2_S2_S2_PdPii.has_dyn_sized_stack, 0
	.set _Z11ccc_loop2_2PKiPKdS2_S2_S2_PdPii.has_recursion, 0
	.set _Z11ccc_loop2_2PKiPKdS2_S2_S2_PdPii.has_indirect_call, 0
	.section	.AMDGPU.csdata,"",@progbits
; Kernel info:
; codeLenInByte = 340
; TotalNumSgprs: 20
; NumVgprs: 14
; ScratchSize: 0
; MemoryBound: 0
; FloatMode: 240
; IeeeMode: 1
; LDSByteSize: 0 bytes/workgroup (compile time only)
; SGPRBlocks: 2
; VGPRBlocks: 3
; NumSGPRsForWavesPerEU: 20
; NumVGPRsForWavesPerEU: 14
; Occupancy: 10
; WaveLimiterHint : 1
; COMPUTE_PGM_RSRC2:SCRATCH_EN: 0
; COMPUTE_PGM_RSRC2:USER_SGPR: 6
; COMPUTE_PGM_RSRC2:TRAP_HANDLER: 0
; COMPUTE_PGM_RSRC2:TGID_X_EN: 1
; COMPUTE_PGM_RSRC2:TGID_Y_EN: 0
; COMPUTE_PGM_RSRC2:TGID_Z_EN: 0
; COMPUTE_PGM_RSRC2:TIDIG_COMP_CNT: 0
	.text
	.protected	_Z9ccc_loop3PKiS0_S0_PKdS2_PdS3_S2_S2_iiPi ; -- Begin function _Z9ccc_loop3PKiS0_S0_PKdS2_PdS3_S2_S2_iiPi
	.globl	_Z9ccc_loop3PKiS0_S0_PKdS2_PdS3_S2_S2_iiPi
	.p2align	8
	.type	_Z9ccc_loop3PKiS0_S0_PKdS2_PdS3_S2_S2_iiPi,@function
_Z9ccc_loop3PKiS0_S0_PKdS2_PdS3_S2_S2_iiPi: ; @_Z9ccc_loop3PKiS0_S0_PKdS2_PdS3_S2_S2_iiPi
; %bb.0:
	s_mov_b64 s[46:47], s[2:3]
	s_mov_b64 s[44:45], s[0:1]
	s_add_u32 s44, s44, s8
	s_load_dword s0, s[4:5], 0x64
	s_load_dwordx2 s[8:9], s[4:5], 0x48
	s_addc_u32 s45, s45, 0
	s_waitcnt lgkmcnt(0)
	s_and_b32 s1, s0, 0xffff
	s_mul_i32 s6, s6, s1
	v_add_u32_e32 v44, s6, v0
	s_add_i32 s1, s8, -1
	v_cmp_gt_i32_e32 vcc, s1, v44
	s_and_saveexec_b64 s[2:3], vcc
	s_cbranch_execz .LBB4_238
; %bb.1:
	s_lshr_b32 s0, s0, 16
	s_mul_i32 s7, s7, s0
	v_add_u32_e32 v0, s7, v1
	s_add_i32 s0, s9, -1
	v_min_i32_e32 v1, v44, v0
	v_cmp_gt_i32_e32 vcc, s0, v0
	v_cmp_lt_i32_e64 s[0:1], 0, v1
	s_and_b64 s[0:1], s[0:1], vcc
	s_and_b64 exec, exec, s[0:1]
	s_cbranch_execz .LBB4_238
; %bb.2:
	v_mul_lo_u32 v43, v0, s8
	s_load_dwordx4 s[0:3], s[4:5], 0x38
	s_load_dwordx2 s[20:21], s[4:5], 0x20
	s_load_dwordx2 s[22:23], s[4:5], 0x50
	v_add_u32_e32 v23, v43, v44
	v_ashrrev_i32_e32 v24, 31, v23
	v_lshlrev_b64 v[16:17], 3, v[23:24]
	v_subrev_u32_e32 v45, s8, v43
	s_waitcnt lgkmcnt(0)
	v_mov_b32_e32 v1, s1
	v_add_co_u32_e32 v0, vcc, s0, v16
	v_add_u32_e32 v26, v45, v44
	v_addc_co_u32_e32 v1, vcc, v1, v17, vcc
	v_ashrrev_i32_e32 v27, 31, v26
	v_mov_b32_e32 v5, s3
	v_add_co_u32_e32 v4, vcc, s2, v16
	v_lshlrev_b64 v[28:29], 3, v[26:27]
	v_addc_co_u32_e32 v5, vcc, v5, v17, vcc
	v_mov_b32_e32 v8, s1
	v_add_co_u32_e32 v18, vcc, s0, v28
	v_addc_co_u32_e32 v19, vcc, v8, v29, vcc
	v_mov_b32_e32 v8, s3
	v_add_co_u32_e32 v20, vcc, s2, v28
	v_addc_co_u32_e32 v21, vcc, v8, v29, vcc
	v_lshl_add_u32 v42, s8, 1, v45
	global_load_dwordx4 v[0:3], v[0:1], off
	v_add_u32_e32 v34, -1, v23
	global_load_dwordx4 v[4:7], v[4:5], off
	s_nop 0
	global_load_dwordx4 v[12:15], v[20:21], off
	global_load_dwordx4 v[8:11], v[18:19], off
	v_add_u32_e32 v21, v42, v44
	v_ashrrev_i32_e32 v22, 31, v21
	v_lshlrev_b64 v[38:39], 3, v[21:22]
	v_mov_b32_e32 v19, s3
	v_add_co_u32_e32 v18, vcc, s2, v38
	v_addc_co_u32_e32 v19, vcc, v19, v39, vcc
	global_load_dwordx4 v[46:49], v[18:19], off
	s_load_dwordx2 s[6:7], s[4:5], 0x0
	s_load_dwordx4 s[16:19], s[4:5], 0x10
	v_lshlrev_b64 v[18:19], 2, v[23:24]
	v_ashrrev_i32_e32 v35, 31, v34
	v_lshlrev_b64 v[40:41], 3, v[34:35]
	s_waitcnt lgkmcnt(0)
	v_mov_b32_e32 v20, s7
	v_add_co_u32_e32 v30, vcc, s6, v18
	v_addc_co_u32_e32 v31, vcc, v20, v19, vcc
	v_mov_b32_e32 v32, s1
	v_add_co_u32_e32 v18, vcc, s0, v40
	v_addc_co_u32_e32 v19, vcc, v32, v41, vcc
	;; [unrolled: 3-line block ×3, first 2 shown]
	global_load_dwordx2 v[50:51], v[50:51], off
	s_nop 0
	global_load_dwordx2 v[18:19], v[18:19], off
	v_add_u32_e32 v36, -1, v26
	v_ashrrev_i32_e32 v37, 31, v36
	v_lshlrev_b64 v[24:25], 3, v[36:37]
	v_mov_b32_e32 v52, s1
	v_add_co_u32_e32 v54, vcc, s0, v24
	v_addc_co_u32_e32 v55, vcc, v52, v25, vcc
	v_mov_b32_e32 v62, s3
	v_mov_b32_e32 v63, s3
	;; [unrolled: 1-line block ×3, first 2 shown]
	s_waitcnt vmcnt(6)
	v_add_f64 v[52:53], v[0:1], -v[0:1]
	s_waitcnt vmcnt(5)
	v_add_f64 v[32:33], v[4:5], -v[4:5]
	;; [unrolled: 2-line block ×3, first 2 shown]
	v_add_f64 v[56:57], v[4:5], -v[14:15]
	s_waitcnt vmcnt(3)
	v_add_f64 v[58:59], v[0:1], -v[8:9]
	v_add_f64 v[10:11], v[0:1], -v[10:11]
	v_mul_f64 v[14:15], v[32:33], v[32:33]
	v_mul_f64 v[12:13], v[12:13], v[12:13]
	;; [unrolled: 1-line block ×3, first 2 shown]
	v_add_u32_e32 v32, -1, v21
	v_ashrrev_i32_e32 v33, 31, v32
	s_waitcnt vmcnt(2)
	v_add_f64 v[60:61], v[4:5], -v[48:49]
	v_lshlrev_b64 v[48:49], 3, v[32:33]
	v_add_f64 v[46:47], v[4:5], -v[46:47]
	v_fma_f64 v[8:9], v[52:53], v[52:53], v[14:15]
	v_fma_f64 v[14:15], v[58:59], v[58:59], v[12:13]
	v_add_co_u32_e32 v12, vcc, s2, v24
	v_addc_co_u32_e32 v13, vcc, v62, v25, vcc
	v_add_co_u32_e32 v52, vcc, s2, v48
	v_addc_co_u32_e32 v53, vcc, v63, v49, vcc
	global_load_dwordx2 v[58:59], v[12:13], off
	v_fma_f64 v[12:13], v[10:11], v[10:11], v[56:57]
	v_mul_f64 v[46:47], v[46:47], v[46:47]
	s_waitcnt vmcnt(2)
	v_add_f64 v[50:51], v[4:5], -v[50:51]
	s_waitcnt vmcnt(1)
	v_add_f64 v[18:19], v[0:1], -v[18:19]
	v_mul_f64 v[60:61], v[60:61], v[60:61]
	v_mul_f64 v[50:51], v[50:51], v[50:51]
	v_fma_f64 v[10:11], v[18:19], v[18:19], v[50:51]
	global_load_dwordx2 v[18:19], v[52:53], off
	v_add_co_u32_e32 v50, vcc, s0, v38
	v_addc_co_u32_e32 v51, vcc, v20, v39, vcc
	global_load_dwordx4 v[50:53], v[50:51], off
	s_waitcnt vmcnt(2)
	v_add_f64 v[56:57], v[4:5], -v[58:59]
	s_waitcnt vmcnt(1)
	v_add_f64 v[18:19], v[4:5], -v[18:19]
	v_add_f64 v[4:5], v[4:5], -v[6:7]
	v_mov_b32_e32 v7, s1
	v_add_co_u32_e32 v6, vcc, s0, v48
	v_addc_co_u32_e32 v7, vcc, v7, v49, vcc
	global_load_dwordx2 v[54:55], v[54:55], off
	s_nop 0
	global_load_dwordx2 v[6:7], v[6:7], off
	s_waitcnt vmcnt(2)
	v_add_f64 v[50:51], v[0:1], -v[50:51]
	global_load_dword v20, v[30:31], off
	v_add_f64 v[52:53], v[0:1], -v[52:53]
	v_mul_f64 v[4:5], v[4:5], v[4:5]
	s_waitcnt vmcnt(2)
	v_add_f64 v[54:55], v[0:1], -v[54:55]
	s_waitcnt vmcnt(1)
	v_add_f64 v[58:59], v[0:1], -v[6:7]
	v_add_f64 v[0:1], v[0:1], -v[2:3]
	v_mul_f64 v[2:3], v[56:57], v[56:57]
	v_mul_f64 v[56:57], v[18:19], v[18:19]
	s_waitcnt vmcnt(0)
	v_cmp_lt_i32_e32 vcc, 0, v20
	v_fma_f64 v[6:7], v[0:1], v[0:1], v[4:5]
	v_fma_f64 v[18:19], v[54:55], v[54:55], v[2:3]
	;; [unrolled: 1-line block ×5, first 2 shown]
	s_and_saveexec_b64 s[0:1], vcc
	s_xor_b64 s[0:1], exec, s[0:1]
	s_cbranch_execz .LBB4_116
; %bb.3:
	v_add_u32_e32 v22, -1, v44
	v_add_u32_e32 v24, v22, v45
	v_mov_b32_e32 v25, 0
	v_lshlrev_b64 v[27:28], 2, v[24:25]
	v_mov_b32_e32 v29, s7
	v_add_co_u32_e32 v27, vcc, s6, v27
	v_addc_co_u32_e32 v28, vcc, v29, v28, vcc
	global_load_dword v27, v[27:28], off
                                        ; implicit-def: $vgpr28_vgpr29
	s_waitcnt vmcnt(0)
	v_cmp_lt_i32_e32 vcc, 0, v27
	s_and_saveexec_b64 s[2:3], vcc
	s_xor_b64 s[2:3], exec, s[2:3]
	s_cbranch_execz .LBB4_7
; %bb.4:
	v_mov_b32_e32 v28, 0
	v_mov_b32_e32 v29, 0
	v_cmp_eq_u32_e32 vcc, v20, v27
	s_and_saveexec_b64 s[8:9], vcc
	s_cbranch_execz .LBB4_6
; %bb.5:
	v_lshlrev_b64 v[24:25], 3, v[24:25]
	v_mov_b32_e32 v27, s19
	v_add_co_u32_e32 v24, vcc, s18, v24
	v_addc_co_u32_e32 v25, vcc, v27, v25, vcc
	global_load_dwordx2 v[24:25], v[24:25], off
	s_waitcnt vmcnt(0)
	v_div_scale_f64 v[27:28], s[10:11], v[18:19], v[18:19], v[24:25]
	v_div_scale_f64 v[33:34], vcc, v[24:25], v[18:19], v[24:25]
	v_rcp_f64_e32 v[29:30], v[27:28]
	v_fma_f64 v[31:32], -v[27:28], v[29:30], 1.0
	v_fma_f64 v[29:30], v[29:30], v[31:32], v[29:30]
	v_fma_f64 v[31:32], -v[27:28], v[29:30], 1.0
	v_fma_f64 v[29:30], v[29:30], v[31:32], v[29:30]
	v_mul_f64 v[31:32], v[33:34], v[29:30]
	v_fma_f64 v[27:28], -v[27:28], v[31:32], v[33:34]
	v_div_fmas_f64 v[27:28], v[27:28], v[29:30], v[31:32]
	v_div_fixup_f64 v[18:19], v[27:28], v[18:19], v[24:25]
	v_mov_b32_e32 v25, 1
	v_add_f64 v[28:29], v[18:19], 0
.LBB4_6:
	s_or_b64 exec, exec, s[8:9]
                                        ; implicit-def: $vgpr27
                                        ; implicit-def: $vgpr18_vgpr19
.LBB4_7:
	s_or_saveexec_b64 s[2:3], s[2:3]
	v_add_u32_e32 v36, -1, v20
	s_xor_b64 exec, exec, s[2:3]
	s_cbranch_execz .LBB4_17
; %bb.8:
	v_mov_b32_e32 v25, 0
	v_sub_u32_e32 v24, 0, v27
	v_lshlrev_b64 v[28:29], 2, v[24:25]
	v_sub_u32_e32 v30, 1, v27
	v_ashrrev_i32_e32 v31, 31, v30
	v_mov_b32_e32 v24, s23
	v_add_co_u32_e32 v28, vcc, s22, v28
	v_lshlrev_b64 v[30:31], 2, v[30:31]
	v_addc_co_u32_e32 v29, vcc, v24, v29, vcc
	v_add_co_u32_e32 v30, vcc, s22, v30
	v_addc_co_u32_e32 v31, vcc, v24, v31, vcc
	global_load_dword v24, v[28:29], off
	global_load_dword v32, v[30:31], off
	v_mov_b32_e32 v28, 0
	v_mov_b32_e32 v29, 0
	s_waitcnt vmcnt(0)
	v_cmp_lt_i32_e32 vcc, v24, v32
	s_and_saveexec_b64 s[8:9], vcc
	s_cbranch_execz .LBB4_16
; %bb.9:
	v_ashrrev_i32_e32 v25, 31, v24
	v_lshlrev_b64 v[27:28], 2, v[24:25]
	v_mov_b32_e32 v29, s17
	v_add_co_u32_e32 v27, vcc, s16, v27
	v_addc_co_u32_e32 v28, vcc, v29, v28, vcc
	s_mov_b64 s[12:13], 0
                                        ; implicit-def: $sgpr10_sgpr11
                                        ; implicit-def: $sgpr24_sgpr25
                                        ; implicit-def: $sgpr14_sgpr15
	s_branch .LBB4_11
.LBB4_10:                               ;   in Loop: Header=BB4_11 Depth=1
	s_or_b64 exec, exec, s[26:27]
	s_and_b64 s[26:27], exec, s[24:25]
	s_or_b64 s[12:13], s[26:27], s[12:13]
	s_andn2_b64 s[10:11], s[10:11], exec
	s_and_b64 s[26:27], s[14:15], exec
	s_or_b64 s[10:11], s[10:11], s[26:27]
	s_andn2_b64 exec, exec, s[12:13]
	s_cbranch_execz .LBB4_13
.LBB4_11:                               ; =>This Inner Loop Header: Depth=1
	global_load_dword v29, v[27:28], off
	v_mov_b32_e32 v31, v25
	v_mov_b32_e32 v30, v24
	s_or_b64 s[14:15], s[14:15], exec
	s_or_b64 s[24:25], s[24:25], exec
                                        ; implicit-def: $vgpr24_vgpr25
	s_waitcnt vmcnt(0)
	v_cmp_ne_u32_e32 vcc, v29, v36
	s_and_saveexec_b64 s[26:27], vcc
	s_cbranch_execz .LBB4_10
; %bb.12:                               ;   in Loop: Header=BB4_11 Depth=1
	v_add_co_u32_e32 v24, vcc, 1, v30
	v_addc_co_u32_e32 v25, vcc, 0, v31, vcc
	v_add_co_u32_e32 v27, vcc, 4, v27
	v_addc_co_u32_e32 v28, vcc, 0, v28, vcc
	v_cmp_ge_i32_e32 vcc, v24, v32
	s_andn2_b64 s[24:25], s[24:25], exec
	s_and_b64 s[28:29], vcc, exec
	s_andn2_b64 s[14:15], s[14:15], exec
	s_or_b64 s[24:25], s[24:25], s[28:29]
	s_branch .LBB4_10
.LBB4_13:
	s_or_b64 exec, exec, s[12:13]
	v_mov_b32_e32 v28, 0
	v_mov_b32_e32 v29, 0
	v_mov_b32_e32 v25, 0
	s_and_saveexec_b64 s[12:13], s[10:11]
	s_xor_b64 s[10:11], exec, s[12:13]
	s_cbranch_execz .LBB4_15
; %bb.14:
	v_lshlrev_b64 v[24:25], 3, v[30:31]
	v_mov_b32_e32 v27, s21
	v_add_co_u32_e32 v24, vcc, s20, v24
	v_addc_co_u32_e32 v25, vcc, v27, v25, vcc
	global_load_dwordx2 v[24:25], v[24:25], off
	s_waitcnt vmcnt(0)
	v_div_scale_f64 v[27:28], s[12:13], v[18:19], v[18:19], v[24:25]
	v_div_scale_f64 v[33:34], vcc, v[24:25], v[18:19], v[24:25]
	v_rcp_f64_e32 v[29:30], v[27:28]
	v_fma_f64 v[31:32], -v[27:28], v[29:30], 1.0
	v_fma_f64 v[29:30], v[29:30], v[31:32], v[29:30]
	v_fma_f64 v[31:32], -v[27:28], v[29:30], 1.0
	v_fma_f64 v[29:30], v[29:30], v[31:32], v[29:30]
	v_mul_f64 v[31:32], v[33:34], v[29:30]
	v_fma_f64 v[27:28], -v[27:28], v[31:32], v[33:34]
	v_div_fmas_f64 v[27:28], v[27:28], v[29:30], v[31:32]
	v_div_fixup_f64 v[18:19], v[27:28], v[18:19], v[24:25]
	v_mov_b32_e32 v25, 1
	v_add_f64 v[28:29], v[18:19], 0
.LBB4_15:
	s_or_b64 exec, exec, s[10:11]
.LBB4_16:
	s_or_b64 exec, exec, s[8:9]
.LBB4_17:
	s_or_b64 exec, exec, s[2:3]
	v_mov_b32_e32 v27, 0
	v_lshlrev_b64 v[18:19], 2, v[26:27]
	v_mov_b32_e32 v24, s7
	v_add_co_u32_e32 v18, vcc, s6, v18
	v_addc_co_u32_e32 v19, vcc, v24, v19, vcc
	global_load_dword v24, v[18:19], off
	s_waitcnt vmcnt(0)
	v_cmp_lt_i32_e32 vcc, 0, v24
	s_and_saveexec_b64 s[2:3], vcc
	s_xor_b64 s[2:3], exec, s[2:3]
	s_cbranch_execz .LBB4_21
; %bb.18:
	v_cmp_eq_u32_e32 vcc, v20, v24
	s_and_saveexec_b64 s[8:9], vcc
	s_cbranch_execz .LBB4_20
; %bb.19:
	v_lshlrev_b64 v[30:31], 3, v[26:27]
	v_mov_b32_e32 v24, s19
	v_add_co_u32_e32 v30, vcc, s18, v30
	v_addc_co_u32_e32 v31, vcc, v24, v31, vcc
	global_load_dwordx2 v[30:31], v[30:31], off
	v_add_u32_e32 v25, 1, v25
	s_waitcnt vmcnt(0)
	v_div_scale_f64 v[32:33], s[10:11], v[14:15], v[14:15], v[30:31]
	v_div_scale_f64 v[39:40], vcc, v[30:31], v[14:15], v[30:31]
	v_rcp_f64_e32 v[34:35], v[32:33]
	v_fma_f64 v[37:38], -v[32:33], v[34:35], 1.0
	v_fma_f64 v[34:35], v[34:35], v[37:38], v[34:35]
	v_fma_f64 v[37:38], -v[32:33], v[34:35], 1.0
	v_fma_f64 v[34:35], v[34:35], v[37:38], v[34:35]
	v_mul_f64 v[37:38], v[39:40], v[34:35]
	v_fma_f64 v[32:33], -v[32:33], v[37:38], v[39:40]
	v_div_fmas_f64 v[32:33], v[32:33], v[34:35], v[37:38]
	v_div_fixup_f64 v[14:15], v[32:33], v[14:15], v[30:31]
	v_add_f64 v[28:29], v[28:29], v[14:15]
.LBB4_20:
	s_or_b64 exec, exec, s[8:9]
                                        ; implicit-def: $vgpr24
                                        ; implicit-def: $vgpr14_vgpr15
.LBB4_21:
	s_andn2_saveexec_b64 s[2:3], s[2:3]
	s_cbranch_execz .LBB4_31
; %bb.22:
	v_sub_u32_e32 v30, 0, v24
	v_mov_b32_e32 v31, 0
	v_lshlrev_b64 v[30:31], 2, v[30:31]
	v_mov_b32_e32 v32, s23
	v_add_co_u32_e32 v30, vcc, s22, v30
	v_addc_co_u32_e32 v31, vcc, v32, v31, vcc
	v_sub_u32_e32 v32, 1, v24
	v_ashrrev_i32_e32 v33, 31, v32
	v_lshlrev_b64 v[32:33], 2, v[32:33]
	v_mov_b32_e32 v24, s23
	v_add_co_u32_e32 v32, vcc, s22, v32
	v_addc_co_u32_e32 v33, vcc, v24, v33, vcc
	global_load_dword v30, v[30:31], off
	s_nop 0
	global_load_dword v24, v[32:33], off
	s_waitcnt vmcnt(0)
	v_cmp_lt_i32_e32 vcc, v30, v24
	s_and_saveexec_b64 s[8:9], vcc
	s_cbranch_execz .LBB4_30
; %bb.23:
	v_ashrrev_i32_e32 v31, 31, v30
	v_lshlrev_b64 v[32:33], 2, v[30:31]
	v_mov_b32_e32 v34, s17
	v_add_co_u32_e32 v32, vcc, s16, v32
	v_addc_co_u32_e32 v33, vcc, v34, v33, vcc
	s_mov_b64 s[12:13], 0
                                        ; implicit-def: $sgpr10_sgpr11
                                        ; implicit-def: $sgpr24_sgpr25
                                        ; implicit-def: $sgpr14_sgpr15
	s_branch .LBB4_25
.LBB4_24:                               ;   in Loop: Header=BB4_25 Depth=1
	s_or_b64 exec, exec, s[26:27]
	s_and_b64 s[26:27], exec, s[24:25]
	s_or_b64 s[12:13], s[26:27], s[12:13]
	s_andn2_b64 s[10:11], s[10:11], exec
	s_and_b64 s[26:27], s[14:15], exec
	s_or_b64 s[10:11], s[10:11], s[26:27]
	s_andn2_b64 exec, exec, s[12:13]
	s_cbranch_execz .LBB4_27
.LBB4_25:                               ; =>This Inner Loop Header: Depth=1
	global_load_dword v37, v[32:33], off
	v_mov_b32_e32 v35, v31
	v_mov_b32_e32 v34, v30
	s_or_b64 s[14:15], s[14:15], exec
	s_or_b64 s[24:25], s[24:25], exec
                                        ; implicit-def: $vgpr30_vgpr31
	s_waitcnt vmcnt(0)
	v_cmp_ne_u32_e32 vcc, v37, v36
	s_and_saveexec_b64 s[26:27], vcc
	s_cbranch_execz .LBB4_24
; %bb.26:                               ;   in Loop: Header=BB4_25 Depth=1
	v_add_co_u32_e32 v30, vcc, 1, v34
	v_addc_co_u32_e32 v31, vcc, 0, v35, vcc
	v_add_co_u32_e32 v32, vcc, 4, v32
	v_addc_co_u32_e32 v33, vcc, 0, v33, vcc
	v_cmp_ge_i32_e32 vcc, v30, v24
	s_andn2_b64 s[24:25], s[24:25], exec
	s_and_b64 s[28:29], vcc, exec
	s_andn2_b64 s[14:15], s[14:15], exec
	s_or_b64 s[24:25], s[24:25], s[28:29]
	s_branch .LBB4_24
.LBB4_27:
	s_or_b64 exec, exec, s[12:13]
	s_and_saveexec_b64 s[12:13], s[10:11]
	s_xor_b64 s[10:11], exec, s[12:13]
	s_cbranch_execz .LBB4_29
; %bb.28:
	v_lshlrev_b64 v[30:31], 3, v[34:35]
	v_mov_b32_e32 v24, s21
	v_add_co_u32_e32 v30, vcc, s20, v30
	v_addc_co_u32_e32 v31, vcc, v24, v31, vcc
	global_load_dwordx2 v[30:31], v[30:31], off
	v_add_u32_e32 v25, 1, v25
	s_waitcnt vmcnt(0)
	v_div_scale_f64 v[32:33], s[12:13], v[14:15], v[14:15], v[30:31]
	v_div_scale_f64 v[39:40], vcc, v[30:31], v[14:15], v[30:31]
	v_rcp_f64_e32 v[34:35], v[32:33]
	v_fma_f64 v[37:38], -v[32:33], v[34:35], 1.0
	v_fma_f64 v[34:35], v[34:35], v[37:38], v[34:35]
	v_fma_f64 v[37:38], -v[32:33], v[34:35], 1.0
	v_fma_f64 v[34:35], v[34:35], v[37:38], v[34:35]
	v_mul_f64 v[37:38], v[39:40], v[34:35]
	v_fma_f64 v[32:33], -v[32:33], v[37:38], v[39:40]
	v_div_fmas_f64 v[32:33], v[32:33], v[34:35], v[37:38]
	v_div_fixup_f64 v[14:15], v[32:33], v[14:15], v[30:31]
	v_add_f64 v[28:29], v[28:29], v[14:15]
.LBB4_29:
	s_or_b64 exec, exec, s[10:11]
.LBB4_30:
	s_or_b64 exec, exec, s[8:9]
.LBB4_31:
	s_or_b64 exec, exec, s[2:3]
	global_load_dword v14, v[18:19], off offset:4
	s_waitcnt vmcnt(0)
	v_cmp_lt_i32_e32 vcc, 0, v14
	s_and_saveexec_b64 s[2:3], vcc
	s_xor_b64 s[2:3], exec, s[2:3]
	s_cbranch_execz .LBB4_35
; %bb.32:
	v_cmp_eq_u32_e32 vcc, v20, v14
	s_and_saveexec_b64 s[8:9], vcc
	s_cbranch_execz .LBB4_34
; %bb.33:
	v_lshlrev_b64 v[14:15], 3, v[26:27]
	v_mov_b32_e32 v18, s19
	v_add_co_u32_e32 v14, vcc, s18, v14
	v_addc_co_u32_e32 v15, vcc, v18, v15, vcc
	global_load_dwordx2 v[14:15], v[14:15], off offset:8
	v_add_u32_e32 v25, 1, v25
	s_waitcnt vmcnt(0)
	v_div_scale_f64 v[18:19], s[10:11], v[12:13], v[12:13], v[14:15]
	v_div_scale_f64 v[32:33], vcc, v[14:15], v[12:13], v[14:15]
	v_rcp_f64_e32 v[26:27], v[18:19]
	v_fma_f64 v[30:31], -v[18:19], v[26:27], 1.0
	v_fma_f64 v[26:27], v[26:27], v[30:31], v[26:27]
	v_fma_f64 v[30:31], -v[18:19], v[26:27], 1.0
	v_fma_f64 v[26:27], v[26:27], v[30:31], v[26:27]
	v_mul_f64 v[30:31], v[32:33], v[26:27]
	v_fma_f64 v[18:19], -v[18:19], v[30:31], v[32:33]
	v_div_fmas_f64 v[18:19], v[18:19], v[26:27], v[30:31]
	v_div_fixup_f64 v[12:13], v[18:19], v[12:13], v[14:15]
	v_add_f64 v[28:29], v[28:29], v[12:13]
.LBB4_34:
	s_or_b64 exec, exec, s[8:9]
                                        ; implicit-def: $vgpr14
                                        ; implicit-def: $vgpr12_vgpr13
.LBB4_35:
	s_andn2_saveexec_b64 s[2:3], s[2:3]
	s_cbranch_execz .LBB4_45
; %bb.36:
	v_sub_u32_e32 v18, 0, v14
	v_mov_b32_e32 v19, 0
	v_lshlrev_b64 v[18:19], 2, v[18:19]
	v_mov_b32_e32 v15, s23
	v_add_co_u32_e32 v18, vcc, s22, v18
	v_sub_u32_e32 v14, 1, v14
	v_addc_co_u32_e32 v19, vcc, v15, v19, vcc
	v_ashrrev_i32_e32 v15, 31, v14
	v_lshlrev_b64 v[14:15], 2, v[14:15]
	v_mov_b32_e32 v24, s23
	v_add_co_u32_e32 v26, vcc, s22, v14
	v_addc_co_u32_e32 v27, vcc, v24, v15, vcc
	global_load_dword v14, v[18:19], off
	global_load_dword v24, v[26:27], off
	s_waitcnt vmcnt(0)
	v_cmp_lt_i32_e32 vcc, v14, v24
	s_and_saveexec_b64 s[8:9], vcc
	s_cbranch_execz .LBB4_44
; %bb.37:
	v_ashrrev_i32_e32 v15, 31, v14
	v_lshlrev_b64 v[18:19], 2, v[14:15]
	v_mov_b32_e32 v26, s17
	v_add_co_u32_e32 v18, vcc, s16, v18
	v_addc_co_u32_e32 v19, vcc, v26, v19, vcc
	s_mov_b64 s[12:13], 0
                                        ; implicit-def: $sgpr10_sgpr11
                                        ; implicit-def: $sgpr24_sgpr25
                                        ; implicit-def: $sgpr14_sgpr15
	s_branch .LBB4_39
.LBB4_38:                               ;   in Loop: Header=BB4_39 Depth=1
	s_or_b64 exec, exec, s[26:27]
	s_and_b64 s[26:27], exec, s[24:25]
	s_or_b64 s[12:13], s[26:27], s[12:13]
	s_andn2_b64 s[10:11], s[10:11], exec
	s_and_b64 s[26:27], s[14:15], exec
	s_or_b64 s[10:11], s[10:11], s[26:27]
	s_andn2_b64 exec, exec, s[12:13]
	s_cbranch_execz .LBB4_41
.LBB4_39:                               ; =>This Inner Loop Header: Depth=1
	global_load_dword v30, v[18:19], off
	v_mov_b32_e32 v27, v15
	v_mov_b32_e32 v26, v14
	s_or_b64 s[14:15], s[14:15], exec
	s_or_b64 s[24:25], s[24:25], exec
                                        ; implicit-def: $vgpr14_vgpr15
	s_waitcnt vmcnt(0)
	v_cmp_ne_u32_e32 vcc, v30, v36
	s_and_saveexec_b64 s[26:27], vcc
	s_cbranch_execz .LBB4_38
; %bb.40:                               ;   in Loop: Header=BB4_39 Depth=1
	v_add_co_u32_e32 v14, vcc, 1, v26
	v_addc_co_u32_e32 v15, vcc, 0, v27, vcc
	v_add_co_u32_e32 v18, vcc, 4, v18
	v_addc_co_u32_e32 v19, vcc, 0, v19, vcc
	v_cmp_ge_i32_e32 vcc, v14, v24
	s_andn2_b64 s[24:25], s[24:25], exec
	s_and_b64 s[28:29], vcc, exec
	s_andn2_b64 s[14:15], s[14:15], exec
	s_or_b64 s[24:25], s[24:25], s[28:29]
	s_branch .LBB4_38
.LBB4_41:
	s_or_b64 exec, exec, s[12:13]
	s_and_saveexec_b64 s[12:13], s[10:11]
	s_xor_b64 s[10:11], exec, s[12:13]
	s_cbranch_execz .LBB4_43
; %bb.42:
	v_lshlrev_b64 v[14:15], 3, v[26:27]
	v_mov_b32_e32 v18, s21
	v_add_co_u32_e32 v14, vcc, s20, v14
	v_addc_co_u32_e32 v15, vcc, v18, v15, vcc
	global_load_dwordx2 v[14:15], v[14:15], off
	v_add_u32_e32 v25, 1, v25
	s_waitcnt vmcnt(0)
	v_div_scale_f64 v[18:19], s[12:13], v[12:13], v[12:13], v[14:15]
	v_div_scale_f64 v[32:33], vcc, v[14:15], v[12:13], v[14:15]
	v_rcp_f64_e32 v[26:27], v[18:19]
	v_fma_f64 v[30:31], -v[18:19], v[26:27], 1.0
	v_fma_f64 v[26:27], v[26:27], v[30:31], v[26:27]
	v_fma_f64 v[30:31], -v[18:19], v[26:27], 1.0
	v_fma_f64 v[26:27], v[26:27], v[30:31], v[26:27]
	v_mul_f64 v[30:31], v[32:33], v[26:27]
	v_fma_f64 v[18:19], -v[18:19], v[30:31], v[32:33]
	v_div_fmas_f64 v[18:19], v[18:19], v[26:27], v[30:31]
	v_div_fixup_f64 v[12:13], v[18:19], v[12:13], v[14:15]
	v_add_f64 v[28:29], v[28:29], v[12:13]
.LBB4_43:
	s_or_b64 exec, exec, s[10:11]
.LBB4_44:
	s_or_b64 exec, exec, s[8:9]
.LBB4_45:
	s_or_b64 exec, exec, s[2:3]
	v_add_u32_e32 v12, v22, v43
	v_mov_b32_e32 v13, 0
	v_lshlrev_b64 v[14:15], 2, v[12:13]
	v_mov_b32_e32 v18, s7
	v_add_co_u32_e32 v14, vcc, s6, v14
	v_addc_co_u32_e32 v15, vcc, v18, v15, vcc
	global_load_dword v14, v[14:15], off
	s_waitcnt vmcnt(0)
	v_cmp_lt_i32_e32 vcc, 0, v14
	s_and_saveexec_b64 s[2:3], vcc
	s_xor_b64 s[2:3], exec, s[2:3]
	s_cbranch_execz .LBB4_49
; %bb.46:
	v_cmp_eq_u32_e32 vcc, v20, v14
	s_and_saveexec_b64 s[8:9], vcc
	s_cbranch_execz .LBB4_48
; %bb.47:
	v_lshlrev_b64 v[12:13], 3, v[12:13]
	v_mov_b32_e32 v14, s19
	v_add_co_u32_e32 v12, vcc, s18, v12
	v_addc_co_u32_e32 v13, vcc, v14, v13, vcc
	global_load_dwordx2 v[12:13], v[12:13], off
	v_add_u32_e32 v25, 1, v25
	s_waitcnt vmcnt(0)
	v_div_scale_f64 v[14:15], s[10:11], v[10:11], v[10:11], v[12:13]
	v_div_scale_f64 v[30:31], vcc, v[12:13], v[10:11], v[12:13]
	v_rcp_f64_e32 v[18:19], v[14:15]
	v_fma_f64 v[26:27], -v[14:15], v[18:19], 1.0
	v_fma_f64 v[18:19], v[18:19], v[26:27], v[18:19]
	v_fma_f64 v[26:27], -v[14:15], v[18:19], 1.0
	v_fma_f64 v[18:19], v[18:19], v[26:27], v[18:19]
	v_mul_f64 v[26:27], v[30:31], v[18:19]
	v_fma_f64 v[14:15], -v[14:15], v[26:27], v[30:31]
	v_div_fmas_f64 v[14:15], v[14:15], v[18:19], v[26:27]
	v_div_fixup_f64 v[10:11], v[14:15], v[10:11], v[12:13]
	v_add_f64 v[28:29], v[28:29], v[10:11]
.LBB4_48:
	s_or_b64 exec, exec, s[8:9]
                                        ; implicit-def: $vgpr14
                                        ; implicit-def: $vgpr10_vgpr11
.LBB4_49:
	s_andn2_saveexec_b64 s[2:3], s[2:3]
	s_cbranch_execz .LBB4_59
; %bb.50:
	v_sub_u32_e32 v12, 0, v14
	v_mov_b32_e32 v13, 0
	v_lshlrev_b64 v[12:13], 2, v[12:13]
	v_mov_b32_e32 v15, s23
	v_add_co_u32_e32 v18, vcc, s22, v12
	v_sub_u32_e32 v12, 1, v14
	v_addc_co_u32_e32 v19, vcc, v15, v13, vcc
	v_ashrrev_i32_e32 v13, 31, v12
	v_lshlrev_b64 v[12:13], 2, v[12:13]
	v_add_co_u32_e32 v14, vcc, s22, v12
	v_addc_co_u32_e32 v15, vcc, v15, v13, vcc
	global_load_dword v12, v[18:19], off
	global_load_dword v24, v[14:15], off
	s_waitcnt vmcnt(0)
	v_cmp_lt_i32_e32 vcc, v12, v24
	s_and_saveexec_b64 s[8:9], vcc
	s_cbranch_execz .LBB4_58
; %bb.51:
	v_ashrrev_i32_e32 v13, 31, v12
	v_lshlrev_b64 v[14:15], 2, v[12:13]
	v_mov_b32_e32 v18, s17
	v_add_co_u32_e32 v14, vcc, s16, v14
	v_addc_co_u32_e32 v15, vcc, v18, v15, vcc
	s_mov_b64 s[12:13], 0
                                        ; implicit-def: $sgpr10_sgpr11
                                        ; implicit-def: $sgpr24_sgpr25
                                        ; implicit-def: $sgpr14_sgpr15
	s_branch .LBB4_53
.LBB4_52:                               ;   in Loop: Header=BB4_53 Depth=1
	s_or_b64 exec, exec, s[26:27]
	s_and_b64 s[26:27], exec, s[24:25]
	s_or_b64 s[12:13], s[26:27], s[12:13]
	s_andn2_b64 s[10:11], s[10:11], exec
	s_and_b64 s[26:27], s[14:15], exec
	s_or_b64 s[10:11], s[10:11], s[26:27]
	s_andn2_b64 exec, exec, s[12:13]
	s_cbranch_execz .LBB4_55
.LBB4_53:                               ; =>This Inner Loop Header: Depth=1
	global_load_dword v26, v[14:15], off
	v_mov_b32_e32 v19, v13
	v_mov_b32_e32 v18, v12
	s_or_b64 s[14:15], s[14:15], exec
	s_or_b64 s[24:25], s[24:25], exec
                                        ; implicit-def: $vgpr12_vgpr13
	s_waitcnt vmcnt(0)
	v_cmp_ne_u32_e32 vcc, v26, v36
	s_and_saveexec_b64 s[26:27], vcc
	s_cbranch_execz .LBB4_52
; %bb.54:                               ;   in Loop: Header=BB4_53 Depth=1
	v_add_co_u32_e32 v12, vcc, 1, v18
	v_addc_co_u32_e32 v13, vcc, 0, v19, vcc
	v_add_co_u32_e32 v14, vcc, 4, v14
	v_addc_co_u32_e32 v15, vcc, 0, v15, vcc
	v_cmp_ge_i32_e32 vcc, v12, v24
	s_andn2_b64 s[24:25], s[24:25], exec
	s_and_b64 s[28:29], vcc, exec
	s_andn2_b64 s[14:15], s[14:15], exec
	s_or_b64 s[24:25], s[24:25], s[28:29]
	s_branch .LBB4_52
.LBB4_55:
	s_or_b64 exec, exec, s[12:13]
	s_and_saveexec_b64 s[12:13], s[10:11]
	s_xor_b64 s[10:11], exec, s[12:13]
	s_cbranch_execz .LBB4_57
; %bb.56:
	v_lshlrev_b64 v[12:13], 3, v[18:19]
	v_mov_b32_e32 v14, s21
	v_add_co_u32_e32 v12, vcc, s20, v12
	v_addc_co_u32_e32 v13, vcc, v14, v13, vcc
	global_load_dwordx2 v[12:13], v[12:13], off
	v_add_u32_e32 v25, 1, v25
	s_waitcnt vmcnt(0)
	v_div_scale_f64 v[14:15], s[12:13], v[10:11], v[10:11], v[12:13]
	v_div_scale_f64 v[30:31], vcc, v[12:13], v[10:11], v[12:13]
	v_rcp_f64_e32 v[18:19], v[14:15]
	v_fma_f64 v[26:27], -v[14:15], v[18:19], 1.0
	v_fma_f64 v[18:19], v[18:19], v[26:27], v[18:19]
	v_fma_f64 v[26:27], -v[14:15], v[18:19], 1.0
	v_fma_f64 v[18:19], v[18:19], v[26:27], v[18:19]
	v_mul_f64 v[26:27], v[30:31], v[18:19]
	v_fma_f64 v[14:15], -v[14:15], v[26:27], v[30:31]
	v_div_fmas_f64 v[14:15], v[14:15], v[18:19], v[26:27]
	v_div_fixup_f64 v[10:11], v[14:15], v[10:11], v[12:13]
	v_add_f64 v[28:29], v[28:29], v[10:11]
.LBB4_57:
	s_or_b64 exec, exec, s[10:11]
.LBB4_58:
	s_or_b64 exec, exec, s[8:9]
.LBB4_59:
	s_or_b64 exec, exec, s[2:3]
	v_mov_b32_e32 v24, 0
	v_lshlrev_b64 v[10:11], 3, v[23:24]
	v_mov_b32_e32 v12, s19
	v_add_co_u32_e32 v10, vcc, s18, v10
	v_addc_co_u32_e32 v11, vcc, v12, v11, vcc
	global_load_dwordx2 v[13:14], v[10:11], off
	v_lshlrev_b64 v[23:24], 2, v[23:24]
	v_mov_b32_e32 v12, s7
	v_add_co_u32_e32 v23, vcc, s6, v23
	v_addc_co_u32_e32 v24, vcc, v12, v24, vcc
	global_load_dword v12, v[23:24], off offset:4
	s_waitcnt vmcnt(1)
	v_div_scale_f64 v[18:19], s[2:3], v[8:9], v[8:9], v[13:14]
	v_rcp_f64_e32 v[26:27], v[18:19]
	v_fma_f64 v[30:31], -v[18:19], v[26:27], 1.0
	v_fma_f64 v[23:24], v[26:27], v[30:31], v[26:27]
	v_div_scale_f64 v[30:31], vcc, v[13:14], v[8:9], v[13:14]
	v_fma_f64 v[26:27], -v[18:19], v[23:24], 1.0
	v_fma_f64 v[23:24], v[23:24], v[26:27], v[23:24]
	v_mul_f64 v[26:27], v[30:31], v[23:24]
	v_fma_f64 v[18:19], -v[18:19], v[26:27], v[30:31]
	v_div_fmas_f64 v[18:19], v[18:19], v[23:24], v[26:27]
	s_waitcnt vmcnt(0)
	v_cmp_lt_i32_e32 vcc, 0, v12
	v_div_fixup_f64 v[8:9], v[18:19], v[8:9], v[13:14]
	v_add_u32_e32 v18, 1, v25
	v_add_f64 v[8:9], v[28:29], v[8:9]
	s_and_saveexec_b64 s[2:3], vcc
	s_xor_b64 s[2:3], exec, s[2:3]
	s_cbranch_execz .LBB4_63
; %bb.60:
	v_cmp_eq_u32_e32 vcc, v20, v12
	s_and_saveexec_b64 s[8:9], vcc
	s_cbranch_execz .LBB4_62
; %bb.61:
	global_load_dwordx2 v[10:11], v[10:11], off offset:8
	s_waitcnt vmcnt(0)
	v_div_scale_f64 v[12:13], s[10:11], v[6:7], v[6:7], v[10:11]
	v_div_scale_f64 v[23:24], vcc, v[10:11], v[6:7], v[10:11]
	v_rcp_f64_e32 v[14:15], v[12:13]
	v_fma_f64 v[18:19], -v[12:13], v[14:15], 1.0
	v_fma_f64 v[14:15], v[14:15], v[18:19], v[14:15]
	v_fma_f64 v[18:19], -v[12:13], v[14:15], 1.0
	v_fma_f64 v[14:15], v[14:15], v[18:19], v[14:15]
	v_mul_f64 v[18:19], v[23:24], v[14:15]
	v_fma_f64 v[12:13], -v[12:13], v[18:19], v[23:24]
	v_div_fmas_f64 v[12:13], v[12:13], v[14:15], v[18:19]
	v_add_u32_e32 v18, 2, v25
	v_div_fixup_f64 v[6:7], v[12:13], v[6:7], v[10:11]
	v_add_f64 v[8:9], v[8:9], v[6:7]
.LBB4_62:
	s_or_b64 exec, exec, s[8:9]
                                        ; implicit-def: $vgpr12
                                        ; implicit-def: $vgpr6_vgpr7
                                        ; implicit-def: $vgpr25
.LBB4_63:
	s_andn2_saveexec_b64 s[2:3], s[2:3]
	s_cbranch_execz .LBB4_73
; %bb.64:
	v_sub_u32_e32 v10, 0, v12
	v_mov_b32_e32 v11, 0
	v_lshlrev_b64 v[10:11], 2, v[10:11]
	v_mov_b32_e32 v14, s23
	v_add_co_u32_e32 v13, vcc, s22, v10
	v_sub_u32_e32 v10, 1, v12
	v_addc_co_u32_e32 v14, vcc, v14, v11, vcc
	v_ashrrev_i32_e32 v11, 31, v10
	v_lshlrev_b64 v[10:11], 2, v[10:11]
	v_mov_b32_e32 v12, s23
	v_add_co_u32_e32 v23, vcc, s22, v10
	v_addc_co_u32_e32 v24, vcc, v12, v11, vcc
	global_load_dword v10, v[13:14], off
	global_load_dword v19, v[23:24], off
	s_waitcnt vmcnt(0)
	v_cmp_lt_i32_e32 vcc, v10, v19
	s_and_saveexec_b64 s[8:9], vcc
	s_cbranch_execz .LBB4_72
; %bb.65:
	v_ashrrev_i32_e32 v11, 31, v10
	v_lshlrev_b64 v[12:13], 2, v[10:11]
	v_mov_b32_e32 v14, s17
	v_add_co_u32_e32 v12, vcc, s16, v12
	v_addc_co_u32_e32 v13, vcc, v14, v13, vcc
	s_mov_b64 s[12:13], 0
                                        ; implicit-def: $sgpr10_sgpr11
                                        ; implicit-def: $sgpr24_sgpr25
                                        ; implicit-def: $sgpr14_sgpr15
	s_branch .LBB4_67
.LBB4_66:                               ;   in Loop: Header=BB4_67 Depth=1
	s_or_b64 exec, exec, s[26:27]
	s_and_b64 s[26:27], exec, s[24:25]
	s_or_b64 s[12:13], s[26:27], s[12:13]
	s_andn2_b64 s[10:11], s[10:11], exec
	s_and_b64 s[26:27], s[14:15], exec
	s_or_b64 s[10:11], s[10:11], s[26:27]
	s_andn2_b64 exec, exec, s[12:13]
	s_cbranch_execz .LBB4_69
.LBB4_67:                               ; =>This Inner Loop Header: Depth=1
	global_load_dword v23, v[12:13], off
	v_mov_b32_e32 v15, v11
	v_mov_b32_e32 v14, v10
	s_or_b64 s[14:15], s[14:15], exec
	s_or_b64 s[24:25], s[24:25], exec
                                        ; implicit-def: $vgpr10_vgpr11
	s_waitcnt vmcnt(0)
	v_cmp_ne_u32_e32 vcc, v23, v36
	s_and_saveexec_b64 s[26:27], vcc
	s_cbranch_execz .LBB4_66
; %bb.68:                               ;   in Loop: Header=BB4_67 Depth=1
	v_add_co_u32_e32 v10, vcc, 1, v14
	v_addc_co_u32_e32 v11, vcc, 0, v15, vcc
	v_add_co_u32_e32 v12, vcc, 4, v12
	v_addc_co_u32_e32 v13, vcc, 0, v13, vcc
	v_cmp_ge_i32_e32 vcc, v10, v19
	s_andn2_b64 s[24:25], s[24:25], exec
	s_and_b64 s[28:29], vcc, exec
	s_andn2_b64 s[14:15], s[14:15], exec
	s_or_b64 s[24:25], s[24:25], s[28:29]
	s_branch .LBB4_66
.LBB4_69:
	s_or_b64 exec, exec, s[12:13]
	s_and_saveexec_b64 s[12:13], s[10:11]
	s_xor_b64 s[10:11], exec, s[12:13]
	s_cbranch_execz .LBB4_71
; %bb.70:
	v_lshlrev_b64 v[10:11], 3, v[14:15]
	v_mov_b32_e32 v12, s21
	v_add_co_u32_e32 v10, vcc, s20, v10
	v_addc_co_u32_e32 v11, vcc, v12, v11, vcc
	global_load_dwordx2 v[10:11], v[10:11], off
	s_waitcnt vmcnt(0)
	v_div_scale_f64 v[12:13], s[12:13], v[6:7], v[6:7], v[10:11]
	v_div_scale_f64 v[23:24], vcc, v[10:11], v[6:7], v[10:11]
	v_rcp_f64_e32 v[14:15], v[12:13]
	v_fma_f64 v[18:19], -v[12:13], v[14:15], 1.0
	v_fma_f64 v[14:15], v[14:15], v[18:19], v[14:15]
	v_fma_f64 v[18:19], -v[12:13], v[14:15], 1.0
	v_fma_f64 v[14:15], v[14:15], v[18:19], v[14:15]
	v_mul_f64 v[18:19], v[23:24], v[14:15]
	v_fma_f64 v[12:13], -v[12:13], v[18:19], v[23:24]
	v_div_fmas_f64 v[12:13], v[12:13], v[14:15], v[18:19]
	v_add_u32_e32 v18, 2, v25
	v_div_fixup_f64 v[6:7], v[12:13], v[6:7], v[10:11]
	v_add_f64 v[8:9], v[8:9], v[6:7]
.LBB4_71:
	s_or_b64 exec, exec, s[10:11]
.LBB4_72:
	s_or_b64 exec, exec, s[8:9]
.LBB4_73:
	s_or_b64 exec, exec, s[2:3]
	v_add_u32_e32 v6, v22, v42
	v_mov_b32_e32 v7, 0
	v_lshlrev_b64 v[10:11], 2, v[6:7]
	v_mov_b32_e32 v12, s7
	v_add_co_u32_e32 v10, vcc, s6, v10
	v_addc_co_u32_e32 v11, vcc, v12, v11, vcc
	global_load_dword v10, v[10:11], off
	s_waitcnt vmcnt(0)
	v_cmp_lt_i32_e32 vcc, 0, v10
	s_and_saveexec_b64 s[2:3], vcc
	s_xor_b64 s[2:3], exec, s[2:3]
	s_cbranch_execz .LBB4_77
; %bb.74:
	v_cmp_eq_u32_e32 vcc, v20, v10
	s_and_saveexec_b64 s[8:9], vcc
	s_cbranch_execz .LBB4_76
; %bb.75:
	v_lshlrev_b64 v[6:7], 3, v[6:7]
	v_mov_b32_e32 v10, s19
	v_add_co_u32_e32 v6, vcc, s18, v6
	v_addc_co_u32_e32 v7, vcc, v10, v7, vcc
	global_load_dwordx2 v[6:7], v[6:7], off
	v_add_u32_e32 v18, 1, v18
	s_waitcnt vmcnt(0)
	v_div_scale_f64 v[10:11], s[10:11], v[4:5], v[4:5], v[6:7]
	v_div_scale_f64 v[22:23], vcc, v[6:7], v[4:5], v[6:7]
	v_rcp_f64_e32 v[12:13], v[10:11]
	v_fma_f64 v[14:15], -v[10:11], v[12:13], 1.0
	v_fma_f64 v[12:13], v[12:13], v[14:15], v[12:13]
	v_fma_f64 v[14:15], -v[10:11], v[12:13], 1.0
	v_fma_f64 v[12:13], v[12:13], v[14:15], v[12:13]
	v_mul_f64 v[14:15], v[22:23], v[12:13]
	v_fma_f64 v[10:11], -v[10:11], v[14:15], v[22:23]
	v_div_fmas_f64 v[10:11], v[10:11], v[12:13], v[14:15]
	v_div_fixup_f64 v[4:5], v[10:11], v[4:5], v[6:7]
	v_add_f64 v[8:9], v[8:9], v[4:5]
.LBB4_76:
	s_or_b64 exec, exec, s[8:9]
                                        ; implicit-def: $vgpr10
                                        ; implicit-def: $vgpr4_vgpr5
.LBB4_77:
	s_andn2_saveexec_b64 s[2:3], s[2:3]
	s_cbranch_execz .LBB4_87
; %bb.78:
	v_sub_u32_e32 v6, 0, v10
	v_mov_b32_e32 v7, 0
	v_lshlrev_b64 v[6:7], 2, v[6:7]
	v_mov_b32_e32 v12, s23
	v_add_co_u32_e32 v11, vcc, s22, v6
	v_sub_u32_e32 v6, 1, v10
	v_addc_co_u32_e32 v12, vcc, v12, v7, vcc
	v_ashrrev_i32_e32 v7, 31, v6
	v_lshlrev_b64 v[6:7], 2, v[6:7]
	v_mov_b32_e32 v10, s23
	v_add_co_u32_e32 v22, vcc, s22, v6
	v_addc_co_u32_e32 v23, vcc, v10, v7, vcc
	global_load_dword v6, v[11:12], off
	global_load_dword v14, v[22:23], off
	s_waitcnt vmcnt(0)
	v_cmp_lt_i32_e32 vcc, v6, v14
	s_and_saveexec_b64 s[8:9], vcc
	s_cbranch_execz .LBB4_86
; %bb.79:
	v_ashrrev_i32_e32 v7, 31, v6
	v_lshlrev_b64 v[10:11], 2, v[6:7]
	v_mov_b32_e32 v12, s17
	v_add_co_u32_e32 v10, vcc, s16, v10
	v_addc_co_u32_e32 v11, vcc, v12, v11, vcc
	s_mov_b64 s[12:13], 0
                                        ; implicit-def: $sgpr10_sgpr11
                                        ; implicit-def: $sgpr24_sgpr25
                                        ; implicit-def: $sgpr14_sgpr15
	s_branch .LBB4_81
.LBB4_80:                               ;   in Loop: Header=BB4_81 Depth=1
	s_or_b64 exec, exec, s[26:27]
	s_and_b64 s[26:27], exec, s[24:25]
	s_or_b64 s[12:13], s[26:27], s[12:13]
	s_andn2_b64 s[10:11], s[10:11], exec
	s_and_b64 s[26:27], s[14:15], exec
	s_or_b64 s[10:11], s[10:11], s[26:27]
	s_andn2_b64 exec, exec, s[12:13]
	s_cbranch_execz .LBB4_83
.LBB4_81:                               ; =>This Inner Loop Header: Depth=1
	global_load_dword v15, v[10:11], off
	v_mov_b32_e32 v13, v7
	v_mov_b32_e32 v12, v6
	s_or_b64 s[14:15], s[14:15], exec
	s_or_b64 s[24:25], s[24:25], exec
                                        ; implicit-def: $vgpr6_vgpr7
	s_waitcnt vmcnt(0)
	v_cmp_ne_u32_e32 vcc, v15, v36
	s_and_saveexec_b64 s[26:27], vcc
	s_cbranch_execz .LBB4_80
; %bb.82:                               ;   in Loop: Header=BB4_81 Depth=1
	v_add_co_u32_e32 v6, vcc, 1, v12
	v_addc_co_u32_e32 v7, vcc, 0, v13, vcc
	v_add_co_u32_e32 v10, vcc, 4, v10
	v_addc_co_u32_e32 v11, vcc, 0, v11, vcc
	v_cmp_ge_i32_e32 vcc, v6, v14
	s_andn2_b64 s[24:25], s[24:25], exec
	s_and_b64 s[28:29], vcc, exec
	s_andn2_b64 s[14:15], s[14:15], exec
	s_or_b64 s[24:25], s[24:25], s[28:29]
	s_branch .LBB4_80
.LBB4_83:
	s_or_b64 exec, exec, s[12:13]
	s_and_saveexec_b64 s[12:13], s[10:11]
	s_xor_b64 s[10:11], exec, s[12:13]
	s_cbranch_execz .LBB4_85
; %bb.84:
	v_lshlrev_b64 v[6:7], 3, v[12:13]
	v_mov_b32_e32 v10, s21
	v_add_co_u32_e32 v6, vcc, s20, v6
	v_addc_co_u32_e32 v7, vcc, v10, v7, vcc
	global_load_dwordx2 v[6:7], v[6:7], off
	v_add_u32_e32 v18, 1, v18
	s_waitcnt vmcnt(0)
	v_div_scale_f64 v[10:11], s[12:13], v[4:5], v[4:5], v[6:7]
	v_div_scale_f64 v[22:23], vcc, v[6:7], v[4:5], v[6:7]
	v_rcp_f64_e32 v[12:13], v[10:11]
	v_fma_f64 v[14:15], -v[10:11], v[12:13], 1.0
	v_fma_f64 v[12:13], v[12:13], v[14:15], v[12:13]
	v_fma_f64 v[14:15], -v[10:11], v[12:13], 1.0
	v_fma_f64 v[12:13], v[12:13], v[14:15], v[12:13]
	v_mul_f64 v[14:15], v[22:23], v[12:13]
	v_fma_f64 v[10:11], -v[10:11], v[14:15], v[22:23]
	v_div_fmas_f64 v[10:11], v[10:11], v[12:13], v[14:15]
	v_div_fixup_f64 v[4:5], v[10:11], v[4:5], v[6:7]
	v_add_f64 v[8:9], v[8:9], v[4:5]
.LBB4_85:
	s_or_b64 exec, exec, s[10:11]
.LBB4_86:
	s_or_b64 exec, exec, s[8:9]
.LBB4_87:
	s_or_b64 exec, exec, s[2:3]
	v_mov_b32_e32 v22, 0
	v_lshlrev_b64 v[4:5], 2, v[21:22]
	v_mov_b32_e32 v6, s7
	v_add_co_u32_e32 v4, vcc, s6, v4
	v_addc_co_u32_e32 v5, vcc, v6, v5, vcc
	global_load_dword v6, v[4:5], off
	s_waitcnt vmcnt(0)
	v_cmp_lt_i32_e32 vcc, 0, v6
	s_and_saveexec_b64 s[2:3], vcc
	s_xor_b64 s[2:3], exec, s[2:3]
	s_cbranch_execz .LBB4_91
; %bb.88:
	v_cmp_eq_u32_e32 vcc, v20, v6
	s_and_saveexec_b64 s[8:9], vcc
	s_cbranch_execz .LBB4_90
; %bb.89:
	v_lshlrev_b64 v[6:7], 3, v[21:22]
	v_mov_b32_e32 v10, s19
	v_add_co_u32_e32 v6, vcc, s18, v6
	v_addc_co_u32_e32 v7, vcc, v10, v7, vcc
	global_load_dwordx2 v[6:7], v[6:7], off
	v_add_u32_e32 v18, 1, v18
	s_waitcnt vmcnt(0)
	v_div_scale_f64 v[10:11], s[10:11], v[2:3], v[2:3], v[6:7]
	v_div_scale_f64 v[23:24], vcc, v[6:7], v[2:3], v[6:7]
	v_rcp_f64_e32 v[12:13], v[10:11]
	v_fma_f64 v[14:15], -v[10:11], v[12:13], 1.0
	v_fma_f64 v[12:13], v[12:13], v[14:15], v[12:13]
	v_fma_f64 v[14:15], -v[10:11], v[12:13], 1.0
	v_fma_f64 v[12:13], v[12:13], v[14:15], v[12:13]
	v_mul_f64 v[14:15], v[23:24], v[12:13]
	v_fma_f64 v[10:11], -v[10:11], v[14:15], v[23:24]
	v_div_fmas_f64 v[10:11], v[10:11], v[12:13], v[14:15]
	v_div_fixup_f64 v[2:3], v[10:11], v[2:3], v[6:7]
	v_add_f64 v[8:9], v[8:9], v[2:3]
.LBB4_90:
	s_or_b64 exec, exec, s[8:9]
                                        ; implicit-def: $vgpr6
                                        ; implicit-def: $vgpr2_vgpr3
.LBB4_91:
	s_andn2_saveexec_b64 s[2:3], s[2:3]
	s_cbranch_execz .LBB4_101
; %bb.92:
	v_sub_u32_e32 v10, 0, v6
	v_mov_b32_e32 v11, 0
	v_lshlrev_b64 v[10:11], 2, v[10:11]
	v_mov_b32_e32 v7, s23
	v_add_co_u32_e32 v10, vcc, s22, v10
	v_sub_u32_e32 v6, 1, v6
	v_addc_co_u32_e32 v11, vcc, v7, v11, vcc
	v_ashrrev_i32_e32 v7, 31, v6
	v_lshlrev_b64 v[6:7], 2, v[6:7]
	v_mov_b32_e32 v13, s23
	v_add_co_u32_e32 v12, vcc, s22, v6
	v_addc_co_u32_e32 v13, vcc, v13, v7, vcc
	global_load_dword v6, v[10:11], off
	global_load_dword v14, v[12:13], off
	s_waitcnt vmcnt(0)
	v_cmp_lt_i32_e32 vcc, v6, v14
	s_and_saveexec_b64 s[8:9], vcc
	s_cbranch_execz .LBB4_100
; %bb.93:
	v_ashrrev_i32_e32 v7, 31, v6
	v_lshlrev_b64 v[10:11], 2, v[6:7]
	v_mov_b32_e32 v12, s17
	v_add_co_u32_e32 v10, vcc, s16, v10
	v_addc_co_u32_e32 v11, vcc, v12, v11, vcc
	s_mov_b64 s[12:13], 0
                                        ; implicit-def: $sgpr10_sgpr11
                                        ; implicit-def: $sgpr24_sgpr25
                                        ; implicit-def: $sgpr14_sgpr15
	s_branch .LBB4_95
.LBB4_94:                               ;   in Loop: Header=BB4_95 Depth=1
	s_or_b64 exec, exec, s[26:27]
	s_and_b64 s[26:27], exec, s[24:25]
	s_or_b64 s[12:13], s[26:27], s[12:13]
	s_andn2_b64 s[10:11], s[10:11], exec
	s_and_b64 s[26:27], s[14:15], exec
	s_or_b64 s[10:11], s[10:11], s[26:27]
	s_andn2_b64 exec, exec, s[12:13]
	s_cbranch_execz .LBB4_97
.LBB4_95:                               ; =>This Inner Loop Header: Depth=1
	global_load_dword v15, v[10:11], off
	v_mov_b32_e32 v13, v7
	v_mov_b32_e32 v12, v6
	s_or_b64 s[14:15], s[14:15], exec
	s_or_b64 s[24:25], s[24:25], exec
                                        ; implicit-def: $vgpr6_vgpr7
	s_waitcnt vmcnt(0)
	v_cmp_ne_u32_e32 vcc, v15, v36
	s_and_saveexec_b64 s[26:27], vcc
	s_cbranch_execz .LBB4_94
; %bb.96:                               ;   in Loop: Header=BB4_95 Depth=1
	v_add_co_u32_e32 v6, vcc, 1, v12
	v_addc_co_u32_e32 v7, vcc, 0, v13, vcc
	v_add_co_u32_e32 v10, vcc, 4, v10
	v_addc_co_u32_e32 v11, vcc, 0, v11, vcc
	v_cmp_ge_i32_e32 vcc, v6, v14
	s_andn2_b64 s[24:25], s[24:25], exec
	s_and_b64 s[28:29], vcc, exec
	s_andn2_b64 s[14:15], s[14:15], exec
	s_or_b64 s[24:25], s[24:25], s[28:29]
	s_branch .LBB4_94
.LBB4_97:
	s_or_b64 exec, exec, s[12:13]
	s_and_saveexec_b64 s[12:13], s[10:11]
	s_xor_b64 s[10:11], exec, s[12:13]
	s_cbranch_execz .LBB4_99
; %bb.98:
	v_lshlrev_b64 v[6:7], 3, v[12:13]
	v_mov_b32_e32 v10, s21
	v_add_co_u32_e32 v6, vcc, s20, v6
	v_addc_co_u32_e32 v7, vcc, v10, v7, vcc
	global_load_dwordx2 v[6:7], v[6:7], off
	v_add_u32_e32 v18, 1, v18
	s_waitcnt vmcnt(0)
	v_div_scale_f64 v[10:11], s[12:13], v[2:3], v[2:3], v[6:7]
	v_div_scale_f64 v[23:24], vcc, v[6:7], v[2:3], v[6:7]
	v_rcp_f64_e32 v[12:13], v[10:11]
	v_fma_f64 v[14:15], -v[10:11], v[12:13], 1.0
	v_fma_f64 v[12:13], v[12:13], v[14:15], v[12:13]
	v_fma_f64 v[14:15], -v[10:11], v[12:13], 1.0
	v_fma_f64 v[12:13], v[12:13], v[14:15], v[12:13]
	v_mul_f64 v[14:15], v[23:24], v[12:13]
	v_fma_f64 v[10:11], -v[10:11], v[14:15], v[23:24]
	v_div_fmas_f64 v[10:11], v[10:11], v[12:13], v[14:15]
	v_div_fixup_f64 v[2:3], v[10:11], v[2:3], v[6:7]
	v_add_f64 v[8:9], v[8:9], v[2:3]
.LBB4_99:
	s_or_b64 exec, exec, s[10:11]
.LBB4_100:
	s_or_b64 exec, exec, s[8:9]
.LBB4_101:
	s_or_b64 exec, exec, s[2:3]
	global_load_dword v2, v[4:5], off offset:4
	s_load_dwordx2 s[2:3], s[4:5], 0x28
	s_waitcnt vmcnt(0)
	v_cmp_lt_i32_e32 vcc, 0, v2
	s_and_saveexec_b64 s[8:9], vcc
	s_xor_b64 s[8:9], exec, s[8:9]
	s_cbranch_execz .LBB4_105
; %bb.102:
	v_cmp_eq_u32_e32 vcc, v20, v2
	s_and_saveexec_b64 s[10:11], vcc
	s_cbranch_execz .LBB4_104
; %bb.103:
	v_lshlrev_b64 v[2:3], 3, v[21:22]
	v_mov_b32_e32 v4, s19
	v_add_co_u32_e32 v2, vcc, s18, v2
	v_addc_co_u32_e32 v3, vcc, v4, v3, vcc
	global_load_dwordx2 v[2:3], v[2:3], off offset:8
	v_add_u32_e32 v18, 1, v18
	s_waitcnt vmcnt(0)
	v_div_scale_f64 v[4:5], s[12:13], v[0:1], v[0:1], v[2:3]
	v_div_scale_f64 v[12:13], vcc, v[2:3], v[0:1], v[2:3]
	v_rcp_f64_e32 v[6:7], v[4:5]
	v_fma_f64 v[10:11], -v[4:5], v[6:7], 1.0
	v_fma_f64 v[6:7], v[6:7], v[10:11], v[6:7]
	v_fma_f64 v[10:11], -v[4:5], v[6:7], 1.0
	v_fma_f64 v[6:7], v[6:7], v[10:11], v[6:7]
	v_mul_f64 v[10:11], v[12:13], v[6:7]
	v_fma_f64 v[4:5], -v[4:5], v[10:11], v[12:13]
	v_div_fmas_f64 v[4:5], v[4:5], v[6:7], v[10:11]
	v_div_fixup_f64 v[0:1], v[4:5], v[0:1], v[2:3]
	v_add_f64 v[8:9], v[8:9], v[0:1]
.LBB4_104:
	s_or_b64 exec, exec, s[10:11]
                                        ; implicit-def: $vgpr2
                                        ; implicit-def: $vgpr0_vgpr1
                                        ; implicit-def: $vgpr36
.LBB4_105:
	s_andn2_saveexec_b64 s[8:9], s[8:9]
	s_cbranch_execz .LBB4_115
; %bb.106:
	v_sub_u32_e32 v3, 0, v2
	v_mov_b32_e32 v4, 0
	v_lshlrev_b64 v[3:4], 2, v[3:4]
	v_mov_b32_e32 v5, s23
	v_add_co_u32_e32 v3, vcc, s22, v3
	v_addc_co_u32_e32 v4, vcc, v5, v4, vcc
	v_sub_u32_e32 v5, 1, v2
	v_ashrrev_i32_e32 v6, 31, v5
	v_lshlrev_b64 v[5:6], 2, v[5:6]
	v_mov_b32_e32 v2, s23
	v_add_co_u32_e32 v5, vcc, s22, v5
	v_addc_co_u32_e32 v6, vcc, v2, v6, vcc
	global_load_dword v2, v[3:4], off
	global_load_dword v10, v[5:6], off
	s_waitcnt vmcnt(0)
	v_cmp_lt_i32_e32 vcc, v2, v10
	s_and_saveexec_b64 s[10:11], vcc
	s_cbranch_execz .LBB4_114
; %bb.107:
	v_ashrrev_i32_e32 v3, 31, v2
	v_lshlrev_b64 v[4:5], 2, v[2:3]
	v_mov_b32_e32 v6, s17
	v_add_co_u32_e32 v4, vcc, s16, v4
	v_addc_co_u32_e32 v5, vcc, v6, v5, vcc
	s_mov_b64 s[14:15], 0
                                        ; implicit-def: $sgpr12_sgpr13
                                        ; implicit-def: $sgpr26_sgpr27
                                        ; implicit-def: $sgpr24_sgpr25
	s_branch .LBB4_109
.LBB4_108:                              ;   in Loop: Header=BB4_109 Depth=1
	s_or_b64 exec, exec, s[28:29]
	s_and_b64 s[28:29], exec, s[26:27]
	s_or_b64 s[14:15], s[28:29], s[14:15]
	s_andn2_b64 s[12:13], s[12:13], exec
	s_and_b64 s[28:29], s[24:25], exec
	s_or_b64 s[12:13], s[12:13], s[28:29]
	s_andn2_b64 exec, exec, s[14:15]
	s_cbranch_execz .LBB4_111
.LBB4_109:                              ; =>This Inner Loop Header: Depth=1
	global_load_dword v11, v[4:5], off
	v_mov_b32_e32 v7, v3
	v_mov_b32_e32 v6, v2
	s_or_b64 s[24:25], s[24:25], exec
	s_or_b64 s[26:27], s[26:27], exec
                                        ; implicit-def: $vgpr2_vgpr3
	s_waitcnt vmcnt(0)
	v_cmp_ne_u32_e32 vcc, v11, v36
	s_and_saveexec_b64 s[28:29], vcc
	s_cbranch_execz .LBB4_108
; %bb.110:                              ;   in Loop: Header=BB4_109 Depth=1
	v_add_co_u32_e32 v2, vcc, 1, v6
	v_addc_co_u32_e32 v3, vcc, 0, v7, vcc
	v_add_co_u32_e32 v4, vcc, 4, v4
	v_addc_co_u32_e32 v5, vcc, 0, v5, vcc
	v_cmp_ge_i32_e32 vcc, v2, v10
	s_andn2_b64 s[26:27], s[26:27], exec
	s_and_b64 s[30:31], vcc, exec
	s_andn2_b64 s[24:25], s[24:25], exec
	s_or_b64 s[26:27], s[26:27], s[30:31]
	s_branch .LBB4_108
.LBB4_111:
	s_or_b64 exec, exec, s[14:15]
	s_and_saveexec_b64 s[14:15], s[12:13]
	s_xor_b64 s[12:13], exec, s[14:15]
	s_cbranch_execz .LBB4_113
; %bb.112:
	v_lshlrev_b64 v[2:3], 3, v[6:7]
	v_mov_b32_e32 v4, s21
	v_add_co_u32_e32 v2, vcc, s20, v2
	v_addc_co_u32_e32 v3, vcc, v4, v3, vcc
	global_load_dwordx2 v[2:3], v[2:3], off
	v_add_u32_e32 v18, 1, v18
	s_waitcnt vmcnt(0)
	v_div_scale_f64 v[4:5], s[14:15], v[0:1], v[0:1], v[2:3]
	v_div_scale_f64 v[12:13], vcc, v[2:3], v[0:1], v[2:3]
	v_rcp_f64_e32 v[6:7], v[4:5]
	v_fma_f64 v[10:11], -v[4:5], v[6:7], 1.0
	v_fma_f64 v[6:7], v[6:7], v[10:11], v[6:7]
	v_fma_f64 v[10:11], -v[4:5], v[6:7], 1.0
	v_fma_f64 v[6:7], v[6:7], v[10:11], v[6:7]
	v_mul_f64 v[10:11], v[12:13], v[6:7]
	v_fma_f64 v[4:5], -v[4:5], v[10:11], v[12:13]
	v_div_fmas_f64 v[4:5], v[4:5], v[6:7], v[10:11]
	v_div_fixup_f64 v[0:1], v[4:5], v[0:1], v[2:3]
	v_add_f64 v[8:9], v[8:9], v[0:1]
.LBB4_113:
	s_or_b64 exec, exec, s[12:13]
.LBB4_114:
	s_or_b64 exec, exec, s[10:11]
.LBB4_115:
	s_or_b64 exec, exec, s[8:9]
	v_cvt_f64_u32_e32 v[0:1], v18
                                        ; implicit-def: $vgpr18_vgpr19
                                        ; implicit-def: $vgpr14_vgpr15
                                        ; implicit-def: $vgpr12_vgpr13
                                        ; implicit-def: $vgpr30_vgpr31
                                        ; implicit-def: $vgpr20
                                        ; implicit-def: $vgpr36_vgpr37
                                        ; implicit-def: $vgpr24_vgpr25
                                        ; implicit-def: $vgpr26_vgpr27
                                        ; implicit-def: $vgpr28_vgpr29
                                        ; implicit-def: $vgpr34_vgpr35
                                        ; implicit-def: $vgpr40_vgpr41
                                        ; implicit-def: $vgpr32_vgpr33
                                        ; implicit-def: $vgpr48_vgpr49
                                        ; implicit-def: $vgpr21_vgpr22
                                        ; implicit-def: $vgpr38_vgpr39
	v_div_scale_f64 v[2:3], s[8:9], v[0:1], v[0:1], v[8:9]
	v_div_scale_f64 v[10:11], vcc, v[8:9], v[0:1], v[8:9]
	v_rcp_f64_e32 v[4:5], v[2:3]
	v_fma_f64 v[6:7], -v[2:3], v[4:5], 1.0
	v_fma_f64 v[4:5], v[4:5], v[6:7], v[4:5]
	v_fma_f64 v[6:7], -v[2:3], v[4:5], 1.0
	v_fma_f64 v[4:5], v[4:5], v[6:7], v[4:5]
	v_mul_f64 v[6:7], v[10:11], v[4:5]
	v_fma_f64 v[2:3], -v[2:3], v[6:7], v[10:11]
                                        ; implicit-def: $vgpr10_vgpr11
	v_div_fmas_f64 v[2:3], v[2:3], v[4:5], v[6:7]
                                        ; implicit-def: $vgpr6_vgpr7
                                        ; implicit-def: $vgpr4_vgpr5
	v_div_fixup_f64 v[0:1], v[2:3], v[0:1], v[8:9]
	s_waitcnt lgkmcnt(0)
	v_mov_b32_e32 v3, s3
	v_add_co_u32_e32 v2, vcc, s2, v16
	v_addc_co_u32_e32 v3, vcc, v3, v17, vcc
                                        ; implicit-def: $vgpr8_vgpr9
                                        ; implicit-def: $vgpr16_vgpr17
	global_store_dwordx2 v[2:3], v[0:1], off
                                        ; implicit-def: $vgpr2_vgpr3
                                        ; implicit-def: $vgpr0_vgpr1
.LBB4_116:
	s_andn2_saveexec_b64 s[0:1], s[0:1]
	s_cbranch_execz .LBB4_238
; %bb.117:
	v_sub_u32_e32 v60, 0, v20
	v_mov_b32_e32 v61, 0
	v_lshlrev_b64 v[42:43], 2, v[60:61]
	v_sub_u32_e32 v44, 1, v20
	v_ashrrev_i32_e32 v45, 31, v44
	v_mov_b32_e32 v23, s23
	v_add_co_u32_e32 v42, vcc, s22, v42
	v_lshlrev_b64 v[44:45], 2, v[44:45]
	v_addc_co_u32_e32 v43, vcc, v23, v43, vcc
	v_mov_b32_e32 v20, s23
	v_add_co_u32_e32 v44, vcc, s22, v44
	v_addc_co_u32_e32 v45, vcc, v20, v45, vcc
	global_load_dword v20, v[42:43], off
	s_nop 0
	global_load_dword v42, v[44:45], off
	s_waitcnt vmcnt(0)
	v_cmp_lt_i32_e32 vcc, v20, v42
	s_and_b64 exec, exec, vcc
	s_cbranch_execz .LBB4_238
; %bb.118:
	v_lshlrev_b64 v[36:37], 2, v[36:37]
	v_mov_b32_e32 v23, s7
	v_add_co_u32_e32 v36, vcc, s6, v36
	v_addc_co_u32_e32 v37, vcc, v23, v37, vcc
	global_load_dword v43, v[36:37], off
	v_lshlrev_b64 v[26:27], 2, v[26:27]
	v_lshlrev_b64 v[21:22], 2, v[21:22]
	v_add_co_u32_e32 v26, vcc, s6, v26
	v_addc_co_u32_e32 v27, vcc, v23, v27, vcc
	global_load_dwordx2 v[36:37], v[26:27], off
	v_lshlrev_b64 v[26:27], 2, v[34:35]
	v_mov_b32_e32 v34, s19
	v_add_co_u32_e32 v26, vcc, s6, v26
	v_addc_co_u32_e32 v27, vcc, v23, v27, vcc
	global_load_dword v23, v[26:27], off
	v_mov_b32_e32 v27, s19
	global_load_dword v26, v[30:31], off offset:4
	v_add_co_u32_e32 v24, vcc, s18, v24
	v_addc_co_u32_e32 v25, vcc, v27, v25, vcc
	buffer_store_dword v24, off, s[44:47], 0 offset:80 ; 4-byte Folded Spill
	s_nop 0
	buffer_store_dword v25, off, s[44:47], 0 offset:84 ; 4-byte Folded Spill
	v_add_co_u32_e32 v24, vcc, s18, v28
	v_lshlrev_b64 v[30:31], 2, v[32:33]
	v_addc_co_u32_e32 v25, vcc, v34, v29, vcc
	buffer_store_dword v24, off, s[44:47], 0 ; 4-byte Folded Spill
	s_nop 0
	buffer_store_dword v25, off, s[44:47], 0 offset:4 ; 4-byte Folded Spill
	v_mov_b32_e32 v32, s7
	v_add_co_u32_e32 v24, vcc, s6, v30
	v_addc_co_u32_e32 v25, vcc, v32, v31, vcc
	v_mov_b32_e32 v33, s7
	v_add_co_u32_e32 v21, vcc, s6, v21
	v_addc_co_u32_e32 v22, vcc, v33, v22, vcc
	global_load_dword v24, v[24:25], off
	s_nop 0
	global_load_dwordx2 v[21:22], v[21:22], off
	v_mov_b32_e32 v35, s23
	v_mov_b32_e32 v44, s23
	;; [unrolled: 1-line block ×5, first 2 shown]
	s_load_dwordx2 s[24:25], s[4:5], 0x30
	s_waitcnt vmcnt(9)
	v_sub_u32_e32 v60, 0, v43
	v_sub_u32_e32 v27, 1, v43
	v_lshlrev_b64 v[31:32], 2, v[60:61]
	v_ashrrev_i32_e32 v28, 31, v27
	v_lshlrev_b64 v[27:28], 2, v[27:28]
	v_add_co_u32_e32 v31, vcc, s22, v31
	v_add_u32_e32 v25, -1, v43
	v_addc_co_u32_e32 v32, vcc, v35, v32, vcc
	buffer_store_dword v25, off, s[44:47], 0 offset:8 ; 4-byte Folded Spill
	s_waitcnt vmcnt(9)
	v_add_u32_e32 v25, -1, v36
	v_sub_u32_e32 v60, 0, v36
	v_add_co_u32_e32 v27, vcc, s22, v27
	buffer_store_dword v25, off, s[44:47], 0 offset:12 ; 4-byte Folded Spill
	v_add_u32_e32 v25, -1, v37
	v_lshlrev_b64 v[33:34], 2, v[60:61]
	v_addc_co_u32_e32 v28, vcc, v44, v28, vcc
	v_sub_u32_e32 v29, 1, v36
	buffer_store_dword v25, off, s[44:47], 0 offset:16 ; 4-byte Folded Spill
	buffer_store_dword v31, off, s[44:47], 0 offset:20 ; 4-byte Folded Spill
	s_nop 0
	buffer_store_dword v32, off, s[44:47], 0 offset:24 ; 4-byte Folded Spill
	buffer_store_dword v27, off, s[44:47], 0 offset:28 ; 4-byte Folded Spill
	s_nop 0
	buffer_store_dword v28, off, s[44:47], 0 offset:32 ; 4-byte Folded Spill
	v_ashrrev_i32_e32 v30, 31, v29
	v_add_co_u32_e32 v27, vcc, s22, v33
	v_lshlrev_b64 v[29:30], 2, v[29:30]
	v_addc_co_u32_e32 v28, vcc, v45, v34, vcc
	buffer_store_dword v27, off, s[44:47], 0 offset:36 ; 4-byte Folded Spill
	s_nop 0
	buffer_store_dword v28, off, s[44:47], 0 offset:40 ; 4-byte Folded Spill
	v_sub_u32_e32 v60, 0, v37
	v_add_co_u32_e32 v27, vcc, s22, v29
	v_cmp_lt_i32_e64 s[2:3], 0, v36
	v_lshlrev_b64 v[35:36], 2, v[60:61]
	v_addc_co_u32_e32 v28, vcc, v46, v30, vcc
	buffer_store_dword v27, off, s[44:47], 0 offset:44 ; 4-byte Folded Spill
	s_nop 0
	buffer_store_dword v28, off, s[44:47], 0 offset:48 ; 4-byte Folded Spill
	v_add_co_u32_e32 v27, vcc, s22, v35
	v_addc_co_u32_e32 v28, vcc, v47, v36, vcc
	buffer_store_dword v27, off, s[44:47], 0 offset:52 ; 4-byte Folded Spill
	s_nop 0
	buffer_store_dword v28, off, s[44:47], 0 offset:56 ; 4-byte Folded Spill
	v_sub_u32_e32 v27, 1, v37
	v_ashrrev_i32_e32 v28, 31, v27
	v_lshlrev_b64 v[27:28], 2, v[27:28]
	v_mov_b32_e32 v25, s23
	v_add_co_u32_e32 v36, vcc, s22, v27
	v_cmp_lt_i32_e64 s[4:5], 0, v37
	v_addc_co_u32_e32 v37, vcc, v25, v28, vcc
	s_waitcnt vmcnt(20)
	v_add_u32_e32 v25, -1, v23
	buffer_store_dword v25, off, s[44:47], 0 offset:60 ; 4-byte Folded Spill
	v_mov_b32_e32 v25, s19
	v_add_co_u32_e32 v27, vcc, s18, v40
	v_addc_co_u32_e32 v28, vcc, v25, v41, vcc
	buffer_store_dword v27, off, s[44:47], 0 offset:88 ; 4-byte Folded Spill
	s_nop 0
	buffer_store_dword v28, off, s[44:47], 0 offset:92 ; 4-byte Folded Spill
	v_sub_u32_e32 v60, 0, v23
	v_lshlrev_b64 v[27:28], 2, v[60:61]
	v_mov_b32_e32 v25, s23
	v_add_co_u32_e32 v40, vcc, s22, v27
	v_sub_u32_e32 v27, 1, v23
	v_addc_co_u32_e32 v41, vcc, v25, v28, vcc
	v_ashrrev_i32_e32 v28, 31, v27
	v_lshlrev_b64 v[28:29], 2, v[27:28]
	v_cmp_lt_i32_e64 s[6:7], 0, v23
	v_mov_b32_e32 v23, s23
	v_add_co_u32_e32 v28, vcc, s22, v28
	v_addc_co_u32_e32 v29, vcc, v23, v29, vcc
	s_waitcnt vmcnt(22)
	v_add_u32_e32 v23, -1, v26
	buffer_store_dword v23, off, s[44:47], 0 offset:64 ; 4-byte Folded Spill
	v_mov_b32_e32 v23, s19
	v_add_co_u32_e32 v16, vcc, s18, v16
	v_addc_co_u32_e32 v17, vcc, v23, v17, vcc
	buffer_store_dword v16, off, s[44:47], 0 offset:96 ; 4-byte Folded Spill
	s_nop 0
	buffer_store_dword v17, off, s[44:47], 0 offset:100 ; 4-byte Folded Spill
	v_sub_u32_e32 v60, 0, v26
	v_lshlrev_b64 v[16:17], 2, v[60:61]
	v_mov_b32_e32 v23, s23
	v_add_co_u32_e32 v44, vcc, s22, v16
	v_sub_u32_e32 v16, 1, v26
	v_addc_co_u32_e32 v45, vcc, v23, v17, vcc
	v_ashrrev_i32_e32 v17, 31, v16
	v_lshlrev_b64 v[16:17], 2, v[16:17]
	s_waitcnt vmcnt(20)
	v_sub_u32_e32 v60, 0, v24
	v_add_co_u32_e32 v46, vcc, s22, v16
	v_addc_co_u32_e32 v47, vcc, v23, v17, vcc
	v_add_u32_e32 v16, -1, v24
	buffer_store_dword v16, off, s[44:47], 0 offset:68 ; 4-byte Folded Spill
	v_mov_b32_e32 v16, s19
	v_add_co_u32_e32 v25, vcc, s18, v48
	v_cmp_lt_i32_e64 s[8:9], 0, v26
	v_addc_co_u32_e32 v26, vcc, v16, v49, vcc
	v_lshlrev_b64 v[16:17], 2, v[60:61]
	buffer_store_dword v25, off, s[44:47], 0 offset:104 ; 4-byte Folded Spill
	s_nop 0
	buffer_store_dword v26, off, s[44:47], 0 offset:108 ; 4-byte Folded Spill
	v_add_co_u32_e32 v50, vcc, s22, v16
	v_sub_u32_e32 v16, 1, v24
	v_addc_co_u32_e32 v51, vcc, v23, v17, vcc
	v_ashrrev_i32_e32 v17, 31, v16
	v_lshlrev_b64 v[16:17], 2, v[16:17]
	s_waitcnt vmcnt(22)
	v_sub_u32_e32 v60, 0, v21
	v_add_co_u32_e32 v52, vcc, s22, v16
	v_addc_co_u32_e32 v53, vcc, v23, v17, vcc
	v_add_u32_e32 v16, -1, v21
	buffer_store_dword v16, off, s[44:47], 0 offset:72 ; 4-byte Folded Spill
	v_mov_b32_e32 v16, s19
	v_add_co_u32_e32 v54, vcc, s18, v38
	v_addc_co_u32_e32 v55, vcc, v16, v39, vcc
	v_lshlrev_b64 v[16:17], 2, v[60:61]
	v_cmp_lt_i32_e64 s[12:13], 0, v21
	v_add_co_u32_e32 v56, vcc, s22, v16
	v_sub_u32_e32 v16, 1, v21
	v_addc_co_u32_e32 v57, vcc, v23, v17, vcc
	v_ashrrev_i32_e32 v17, 31, v16
	v_lshlrev_b64 v[16:17], 2, v[16:17]
	v_mov_b32_e32 v21, s23
	v_add_co_u32_e32 v58, vcc, s22, v16
	v_add_u32_e32 v16, -1, v22
	v_sub_u32_e32 v60, 0, v22
	v_addc_co_u32_e32 v59, vcc, v21, v17, vcc
	buffer_store_dword v16, off, s[44:47], 0 offset:76 ; 4-byte Folded Spill
	v_lshlrev_b64 v[16:17], 2, v[60:61]
	v_cmp_lt_i32_e64 s[14:15], 0, v22
	v_add_co_u32_e32 v60, vcc, s22, v16
	v_sub_u32_e32 v16, 1, v22
	v_addc_co_u32_e32 v61, vcc, v21, v17, vcc
	v_ashrrev_i32_e32 v17, 31, v16
	v_lshlrev_b64 v[16:17], 2, v[16:17]
	v_mov_b32_e32 v23, s17
	v_add_co_u32_e32 v62, vcc, s22, v16
	v_addc_co_u32_e32 v63, vcc, v21, v17, vcc
	v_ashrrev_i32_e32 v21, 31, v20
	v_lshlrev_b64 v[16:17], 2, v[20:21]
	v_mov_b32_e32 v39, v21
	v_add_co_u32_e32 v22, vcc, s16, v16
	v_cmp_lt_i32_e64 s[0:1], 0, v43
	v_cmp_lt_i32_e64 s[10:11], 0, v24
	v_addc_co_u32_e32 v23, vcc, v23, v17, vcc
	v_mov_b32_e32 v38, v20
	s_mov_b64 s[18:19], 0
	s_branch .LBB4_122
.LBB4_119:                              ;   in Loop: Header=BB4_122 Depth=1
	s_or_b64 exec, exec, s[28:29]
.LBB4_120:                              ;   in Loop: Header=BB4_122 Depth=1
	s_or_b64 exec, exec, s[26:27]
.LBB4_121:                              ;   in Loop: Header=BB4_122 Depth=1
	s_or_b64 exec, exec, s[22:23]
	v_cvt_f64_u32_e32 v[24:25], v30
	v_div_scale_f64 v[26:27], s[22:23], v[24:25], v[24:25], v[16:17]
	v_rcp_f64_e32 v[30:31], v[26:27]
	v_fma_f64 v[32:33], -v[26:27], v[30:31], 1.0
	v_fma_f64 v[30:31], v[30:31], v[32:33], v[30:31]
	v_div_scale_f64 v[32:33], vcc, v[16:17], v[24:25], v[16:17]
	v_fma_f64 v[34:35], -v[26:27], v[30:31], 1.0
	v_fma_f64 v[30:31], v[30:31], v[34:35], v[30:31]
	v_mul_f64 v[34:35], v[32:33], v[30:31]
	v_fma_f64 v[26:27], -v[26:27], v[34:35], v[32:33]
	v_div_fmas_f64 v[26:27], v[26:27], v[30:31], v[34:35]
	v_lshlrev_b64 v[30:31], 3, v[20:21]
	s_waitcnt lgkmcnt(0)
	v_mov_b32_e32 v21, s25
	v_add_u32_e32 v20, 1, v20
	v_div_fixup_f64 v[16:17], v[26:27], v[24:25], v[16:17]
	v_add_co_u32_e32 v24, vcc, s24, v30
	v_addc_co_u32_e32 v25, vcc, v21, v31, vcc
	v_cmp_ge_i32_e32 vcc, v20, v42
	s_or_b64 s[18:19], vcc, s[18:19]
	global_store_dwordx2 v[24:25], v[16:17], off
	s_andn2_b64 exec, exec, s[18:19]
	s_cbranch_execz .LBB4_238
.LBB4_122:                              ; =>This Loop Header: Depth=1
                                        ;     Child Loop BB4_136 Depth 2
                                        ;     Child Loop BB4_148 Depth 2
	;; [unrolled: 1-line block ×9, first 2 shown]
	v_ashrrev_i32_e32 v21, 31, v20
	v_lshlrev_b64 v[16:17], 2, v[20:21]
	v_mov_b32_e32 v24, s17
	v_add_co_u32_e32 v16, vcc, s16, v16
	v_addc_co_u32_e32 v17, vcc, v24, v17, vcc
	global_load_dword v43, v[16:17], off
                                        ; implicit-def: $vgpr16_vgpr17
                                        ; implicit-def: $vgpr30
	s_and_saveexec_b64 s[22:23], s[0:1]
	s_xor_b64 s[22:23], exec, s[22:23]
	s_cbranch_execnz .LBB4_130
; %bb.123:                              ;   in Loop: Header=BB4_122 Depth=1
	s_andn2_saveexec_b64 s[22:23], s[22:23]
	s_cbranch_execnz .LBB4_133
.LBB4_124:                              ;   in Loop: Header=BB4_122 Depth=1
	s_or_b64 exec, exec, s[22:23]
	s_and_saveexec_b64 s[22:23], s[2:3]
	s_xor_b64 s[22:23], exec, s[22:23]
	s_cbranch_execnz .LBB4_142
.LBB4_125:                              ;   in Loop: Header=BB4_122 Depth=1
	s_andn2_saveexec_b64 s[22:23], s[22:23]
	s_cbranch_execnz .LBB4_145
.LBB4_126:                              ;   in Loop: Header=BB4_122 Depth=1
	s_or_b64 exec, exec, s[22:23]
	s_and_saveexec_b64 s[22:23], s[4:5]
	s_xor_b64 s[22:23], exec, s[22:23]
	s_cbranch_execnz .LBB4_154
.LBB4_127:                              ;   in Loop: Header=BB4_122 Depth=1
	s_andn2_saveexec_b64 s[22:23], s[22:23]
	s_cbranch_execnz .LBB4_157
.LBB4_128:                              ;   in Loop: Header=BB4_122 Depth=1
	s_or_b64 exec, exec, s[22:23]
	s_and_saveexec_b64 s[22:23], s[6:7]
	s_xor_b64 s[22:23], exec, s[22:23]
	s_cbranch_execnz .LBB4_166
.LBB4_129:                              ;   in Loop: Header=BB4_122 Depth=1
	s_andn2_saveexec_b64 s[22:23], s[22:23]
	s_cbranch_execnz .LBB4_169
	s_branch .LBB4_178
.LBB4_130:                              ;   in Loop: Header=BB4_122 Depth=1
	buffer_load_dword v16, off, s[44:47], 0 offset:8 ; 4-byte Folded Reload
	v_mov_b32_e32 v30, 0
	s_waitcnt vmcnt(0)
	v_cmp_eq_u32_e32 vcc, v43, v16
	v_mov_b32_e32 v16, 0
	v_mov_b32_e32 v17, 0
	s_and_saveexec_b64 s[26:27], vcc
	s_cbranch_execz .LBB4_132
; %bb.131:                              ;   in Loop: Header=BB4_122 Depth=1
	buffer_load_dword v16, off, s[44:47], 0 offset:80 ; 4-byte Folded Reload
	buffer_load_dword v17, off, s[44:47], 0 offset:84 ; 4-byte Folded Reload
	s_waitcnt vmcnt(0)
	global_load_dwordx2 v[16:17], v[16:17], off
	s_waitcnt vmcnt(0)
	v_div_scale_f64 v[24:25], s[28:29], v[18:19], v[18:19], v[16:17]
	v_div_scale_f64 v[48:49], vcc, v[16:17], v[18:19], v[16:17]
	v_rcp_f64_e32 v[26:27], v[24:25]
	v_fma_f64 v[30:31], -v[24:25], v[26:27], 1.0
	v_fma_f64 v[26:27], v[26:27], v[30:31], v[26:27]
	v_fma_f64 v[30:31], -v[24:25], v[26:27], 1.0
	v_fma_f64 v[26:27], v[26:27], v[30:31], v[26:27]
	v_mul_f64 v[30:31], v[48:49], v[26:27]
	v_fma_f64 v[24:25], -v[24:25], v[30:31], v[48:49]
	v_div_fmas_f64 v[24:25], v[24:25], v[26:27], v[30:31]
	v_mov_b32_e32 v30, 1
	v_div_fixup_f64 v[16:17], v[24:25], v[18:19], v[16:17]
	v_add_f64 v[16:17], v[16:17], 0
.LBB4_132:                              ;   in Loop: Header=BB4_122 Depth=1
	s_or_b64 exec, exec, s[26:27]
	s_andn2_saveexec_b64 s[22:23], s[22:23]
	s_cbranch_execz .LBB4_124
.LBB4_133:                              ;   in Loop: Header=BB4_122 Depth=1
	buffer_load_dword v16, off, s[44:47], 0 offset:20 ; 4-byte Folded Reload
	buffer_load_dword v17, off, s[44:47], 0 offset:24 ; 4-byte Folded Reload
	v_mov_b32_e32 v30, 0
	s_waitcnt vmcnt(0)
	global_load_dword v24, v[16:17], off
	s_nop 0
	buffer_load_dword v16, off, s[44:47], 0 offset:28 ; 4-byte Folded Reload
	buffer_load_dword v17, off, s[44:47], 0 offset:32 ; 4-byte Folded Reload
	s_waitcnt vmcnt(0)
	global_load_dword v26, v[16:17], off
	v_mov_b32_e32 v16, 0
	v_mov_b32_e32 v17, 0
	s_waitcnt vmcnt(0)
	v_cmp_lt_i32_e32 vcc, v24, v26
	s_and_saveexec_b64 s[26:27], vcc
	s_cbranch_execz .LBB4_141
; %bb.134:                              ;   in Loop: Header=BB4_122 Depth=1
	v_ashrrev_i32_e32 v25, 31, v24
	v_lshlrev_b64 v[16:17], 2, v[24:25]
	v_mov_b32_e32 v27, s17
	v_add_co_u32_e32 v16, vcc, s16, v16
	v_addc_co_u32_e32 v17, vcc, v27, v17, vcc
	s_mov_b64 s[30:31], 0
                                        ; implicit-def: $sgpr28_sgpr29
                                        ; implicit-def: $sgpr36_sgpr37
                                        ; implicit-def: $sgpr34_sgpr35
	s_branch .LBB4_136
.LBB4_135:                              ;   in Loop: Header=BB4_136 Depth=2
	s_or_b64 exec, exec, s[38:39]
	s_and_b64 s[38:39], exec, s[36:37]
	s_or_b64 s[30:31], s[38:39], s[30:31]
	s_andn2_b64 s[28:29], s[28:29], exec
	s_and_b64 s[38:39], s[34:35], exec
	s_or_b64 s[28:29], s[28:29], s[38:39]
	s_andn2_b64 exec, exec, s[30:31]
	s_cbranch_execz .LBB4_138
.LBB4_136:                              ;   Parent Loop BB4_122 Depth=1
                                        ; =>  This Inner Loop Header: Depth=2
	v_mov_b32_e32 v49, v25
	v_mov_b32_e32 v48, v24
	global_load_dword v24, v[16:17], off
	s_or_b64 s[34:35], s[34:35], exec
	s_or_b64 s[36:37], s[36:37], exec
	s_waitcnt vmcnt(0)
	v_cmp_ne_u32_e32 vcc, v24, v43
                                        ; implicit-def: $vgpr24_vgpr25
	s_and_saveexec_b64 s[38:39], vcc
	s_cbranch_execz .LBB4_135
; %bb.137:                              ;   in Loop: Header=BB4_136 Depth=2
	v_add_co_u32_e32 v24, vcc, 1, v48
	v_addc_co_u32_e32 v25, vcc, 0, v49, vcc
	v_add_co_u32_e32 v16, vcc, 4, v16
	v_addc_co_u32_e32 v17, vcc, 0, v17, vcc
	v_cmp_ge_i32_e32 vcc, v24, v26
	s_andn2_b64 s[36:37], s[36:37], exec
	s_and_b64 s[40:41], vcc, exec
	s_andn2_b64 s[34:35], s[34:35], exec
	s_or_b64 s[36:37], s[36:37], s[40:41]
	s_branch .LBB4_135
.LBB4_138:                              ;   in Loop: Header=BB4_122 Depth=1
	s_or_b64 exec, exec, s[30:31]
	v_mov_b32_e32 v16, 0
	v_mov_b32_e32 v17, 0
	;; [unrolled: 1-line block ×3, first 2 shown]
	s_and_saveexec_b64 s[30:31], s[28:29]
	s_xor_b64 s[28:29], exec, s[30:31]
	s_cbranch_execz .LBB4_140
; %bb.139:                              ;   in Loop: Header=BB4_122 Depth=1
	v_lshlrev_b64 v[16:17], 3, v[48:49]
	v_mov_b32_e32 v24, s21
	v_add_co_u32_e32 v16, vcc, s20, v16
	v_addc_co_u32_e32 v17, vcc, v24, v17, vcc
	global_load_dwordx2 v[16:17], v[16:17], off
	s_waitcnt vmcnt(0)
	v_div_scale_f64 v[24:25], s[30:31], v[18:19], v[18:19], v[16:17]
	v_div_scale_f64 v[48:49], vcc, v[16:17], v[18:19], v[16:17]
	v_rcp_f64_e32 v[26:27], v[24:25]
	v_fma_f64 v[30:31], -v[24:25], v[26:27], 1.0
	v_fma_f64 v[26:27], v[26:27], v[30:31], v[26:27]
	v_fma_f64 v[30:31], -v[24:25], v[26:27], 1.0
	v_fma_f64 v[26:27], v[26:27], v[30:31], v[26:27]
	v_mul_f64 v[30:31], v[48:49], v[26:27]
	v_fma_f64 v[24:25], -v[24:25], v[30:31], v[48:49]
	v_div_fmas_f64 v[24:25], v[24:25], v[26:27], v[30:31]
	v_mov_b32_e32 v30, 1
	v_div_fixup_f64 v[16:17], v[24:25], v[18:19], v[16:17]
	v_add_f64 v[16:17], v[16:17], 0
.LBB4_140:                              ;   in Loop: Header=BB4_122 Depth=1
	s_or_b64 exec, exec, s[28:29]
.LBB4_141:                              ;   in Loop: Header=BB4_122 Depth=1
	s_or_b64 exec, exec, s[26:27]
	s_or_b64 exec, exec, s[22:23]
	s_and_saveexec_b64 s[22:23], s[2:3]
	s_xor_b64 s[22:23], exec, s[22:23]
	s_cbranch_execz .LBB4_125
.LBB4_142:                              ;   in Loop: Header=BB4_122 Depth=1
	buffer_load_dword v24, off, s[44:47], 0 offset:12 ; 4-byte Folded Reload
	s_waitcnt vmcnt(0)
	v_cmp_eq_u32_e32 vcc, v43, v24
	s_and_saveexec_b64 s[26:27], vcc
	s_cbranch_execz .LBB4_144
; %bb.143:                              ;   in Loop: Header=BB4_122 Depth=1
	buffer_load_dword v24, off, s[44:47], 0 ; 4-byte Folded Reload
	buffer_load_dword v25, off, s[44:47], 0 offset:4 ; 4-byte Folded Reload
	v_add_u32_e32 v30, 1, v30
	s_waitcnt vmcnt(0)
	global_load_dwordx2 v[24:25], v[24:25], off
	s_waitcnt vmcnt(0)
	v_div_scale_f64 v[26:27], s[28:29], v[14:15], v[14:15], v[24:25]
	v_div_scale_f64 v[33:34], vcc, v[24:25], v[14:15], v[24:25]
	v_rcp_f64_e32 v[48:49], v[26:27]
	v_fma_f64 v[31:32], -v[26:27], v[48:49], 1.0
	v_fma_f64 v[31:32], v[48:49], v[31:32], v[48:49]
	v_fma_f64 v[48:49], -v[26:27], v[31:32], 1.0
	v_fma_f64 v[31:32], v[31:32], v[48:49], v[31:32]
	v_mul_f64 v[48:49], v[33:34], v[31:32]
	v_fma_f64 v[26:27], -v[26:27], v[48:49], v[33:34]
	v_div_fmas_f64 v[26:27], v[26:27], v[31:32], v[48:49]
	v_div_fixup_f64 v[24:25], v[26:27], v[14:15], v[24:25]
	v_add_f64 v[16:17], v[16:17], v[24:25]
.LBB4_144:                              ;   in Loop: Header=BB4_122 Depth=1
	s_or_b64 exec, exec, s[26:27]
	s_andn2_saveexec_b64 s[22:23], s[22:23]
	s_cbranch_execz .LBB4_126
.LBB4_145:                              ;   in Loop: Header=BB4_122 Depth=1
	buffer_load_dword v24, off, s[44:47], 0 offset:36 ; 4-byte Folded Reload
	buffer_load_dword v25, off, s[44:47], 0 offset:40 ; 4-byte Folded Reload
	s_waitcnt vmcnt(0)
	global_load_dword v24, v[24:25], off
	s_nop 0
	buffer_load_dword v25, off, s[44:47], 0 offset:44 ; 4-byte Folded Reload
	buffer_load_dword v26, off, s[44:47], 0 offset:48 ; 4-byte Folded Reload
	s_waitcnt vmcnt(0)
	global_load_dword v31, v[25:26], off
	s_waitcnt vmcnt(0)
	v_cmp_lt_i32_e32 vcc, v24, v31
	s_and_saveexec_b64 s[26:27], vcc
	s_cbranch_execz .LBB4_153
; %bb.146:                              ;   in Loop: Header=BB4_122 Depth=1
	v_ashrrev_i32_e32 v25, 31, v24
	v_lshlrev_b64 v[26:27], 2, v[24:25]
	v_mov_b32_e32 v32, s17
	v_add_co_u32_e32 v48, vcc, s16, v26
	v_addc_co_u32_e32 v49, vcc, v32, v27, vcc
	s_mov_b64 s[30:31], 0
                                        ; implicit-def: $sgpr28_sgpr29
                                        ; implicit-def: $sgpr36_sgpr37
                                        ; implicit-def: $sgpr34_sgpr35
	s_branch .LBB4_148
.LBB4_147:                              ;   in Loop: Header=BB4_148 Depth=2
	s_or_b64 exec, exec, s[38:39]
	s_and_b64 s[38:39], exec, s[36:37]
	s_or_b64 s[30:31], s[38:39], s[30:31]
	s_andn2_b64 s[28:29], s[28:29], exec
	s_and_b64 s[38:39], s[34:35], exec
	s_or_b64 s[28:29], s[28:29], s[38:39]
	s_andn2_b64 exec, exec, s[30:31]
	s_cbranch_execz .LBB4_150
.LBB4_148:                              ;   Parent Loop BB4_122 Depth=1
                                        ; =>  This Inner Loop Header: Depth=2
	v_mov_b32_e32 v27, v25
	v_mov_b32_e32 v26, v24
	global_load_dword v24, v[48:49], off
	s_or_b64 s[34:35], s[34:35], exec
	s_or_b64 s[36:37], s[36:37], exec
	s_waitcnt vmcnt(0)
	v_cmp_ne_u32_e32 vcc, v24, v43
                                        ; implicit-def: $vgpr24_vgpr25
	s_and_saveexec_b64 s[38:39], vcc
	s_cbranch_execz .LBB4_147
; %bb.149:                              ;   in Loop: Header=BB4_148 Depth=2
	v_add_co_u32_e32 v24, vcc, 1, v26
	v_addc_co_u32_e32 v25, vcc, 0, v27, vcc
	v_add_co_u32_e32 v48, vcc, 4, v48
	v_addc_co_u32_e32 v49, vcc, 0, v49, vcc
	v_cmp_ge_i32_e32 vcc, v24, v31
	s_andn2_b64 s[36:37], s[36:37], exec
	s_and_b64 s[40:41], vcc, exec
	s_andn2_b64 s[34:35], s[34:35], exec
	s_or_b64 s[36:37], s[36:37], s[40:41]
	s_branch .LBB4_147
.LBB4_150:                              ;   in Loop: Header=BB4_122 Depth=1
	s_or_b64 exec, exec, s[30:31]
	s_and_saveexec_b64 s[30:31], s[28:29]
	s_xor_b64 s[28:29], exec, s[30:31]
	s_cbranch_execz .LBB4_152
; %bb.151:                              ;   in Loop: Header=BB4_122 Depth=1
	v_lshlrev_b64 v[24:25], 3, v[26:27]
	v_mov_b32_e32 v26, s21
	v_add_co_u32_e32 v24, vcc, s20, v24
	v_addc_co_u32_e32 v25, vcc, v26, v25, vcc
	global_load_dwordx2 v[24:25], v[24:25], off
	v_add_u32_e32 v30, 1, v30
	s_waitcnt vmcnt(0)
	v_div_scale_f64 v[26:27], s[30:31], v[14:15], v[14:15], v[24:25]
	v_div_scale_f64 v[48:49], vcc, v[24:25], v[14:15], v[24:25]
	v_rcp_f64_e32 v[31:32], v[26:27]
	v_fma_f64 v[33:34], -v[26:27], v[31:32], 1.0
	v_fma_f64 v[31:32], v[31:32], v[33:34], v[31:32]
	v_fma_f64 v[33:34], -v[26:27], v[31:32], 1.0
	v_fma_f64 v[31:32], v[31:32], v[33:34], v[31:32]
	v_mul_f64 v[33:34], v[48:49], v[31:32]
	v_fma_f64 v[26:27], -v[26:27], v[33:34], v[48:49]
	v_div_fmas_f64 v[26:27], v[26:27], v[31:32], v[33:34]
	v_div_fixup_f64 v[24:25], v[26:27], v[14:15], v[24:25]
	v_add_f64 v[16:17], v[16:17], v[24:25]
.LBB4_152:                              ;   in Loop: Header=BB4_122 Depth=1
	s_or_b64 exec, exec, s[28:29]
.LBB4_153:                              ;   in Loop: Header=BB4_122 Depth=1
	s_or_b64 exec, exec, s[26:27]
	s_or_b64 exec, exec, s[22:23]
	s_and_saveexec_b64 s[22:23], s[4:5]
	s_xor_b64 s[22:23], exec, s[22:23]
	s_cbranch_execz .LBB4_127
.LBB4_154:                              ;   in Loop: Header=BB4_122 Depth=1
	buffer_load_dword v24, off, s[44:47], 0 offset:16 ; 4-byte Folded Reload
	s_waitcnt vmcnt(0)
	v_cmp_eq_u32_e32 vcc, v43, v24
	s_and_saveexec_b64 s[26:27], vcc
	s_cbranch_execz .LBB4_156
; %bb.155:                              ;   in Loop: Header=BB4_122 Depth=1
	buffer_load_dword v24, off, s[44:47], 0 ; 4-byte Folded Reload
	buffer_load_dword v25, off, s[44:47], 0 offset:4 ; 4-byte Folded Reload
	v_add_u32_e32 v30, 1, v30
	s_waitcnt vmcnt(0)
	global_load_dwordx2 v[24:25], v[24:25], off offset:8
	s_waitcnt vmcnt(0)
	v_div_scale_f64 v[26:27], s[28:29], v[12:13], v[12:13], v[24:25]
	v_div_scale_f64 v[48:49], vcc, v[24:25], v[12:13], v[24:25]
	v_rcp_f64_e32 v[31:32], v[26:27]
	v_fma_f64 v[33:34], -v[26:27], v[31:32], 1.0
	v_fma_f64 v[31:32], v[31:32], v[33:34], v[31:32]
	v_fma_f64 v[33:34], -v[26:27], v[31:32], 1.0
	v_fma_f64 v[31:32], v[31:32], v[33:34], v[31:32]
	v_mul_f64 v[33:34], v[48:49], v[31:32]
	v_fma_f64 v[26:27], -v[26:27], v[33:34], v[48:49]
	v_div_fmas_f64 v[26:27], v[26:27], v[31:32], v[33:34]
	v_div_fixup_f64 v[24:25], v[26:27], v[12:13], v[24:25]
	v_add_f64 v[16:17], v[16:17], v[24:25]
.LBB4_156:                              ;   in Loop: Header=BB4_122 Depth=1
	s_or_b64 exec, exec, s[26:27]
	s_andn2_saveexec_b64 s[22:23], s[22:23]
	s_cbranch_execz .LBB4_128
.LBB4_157:                              ;   in Loop: Header=BB4_122 Depth=1
	buffer_load_dword v24, off, s[44:47], 0 offset:52 ; 4-byte Folded Reload
	buffer_load_dword v25, off, s[44:47], 0 offset:56 ; 4-byte Folded Reload
	s_waitcnt vmcnt(0)
	global_load_dword v26, v[24:25], off
	global_load_dword v31, v[36:37], off
	s_waitcnt vmcnt(0)
	v_cmp_lt_i32_e32 vcc, v26, v31
	s_and_saveexec_b64 s[26:27], vcc
	s_cbranch_execz .LBB4_165
; %bb.158:                              ;   in Loop: Header=BB4_122 Depth=1
	v_ashrrev_i32_e32 v27, 31, v26
	v_lshlrev_b64 v[24:25], 2, v[26:27]
	v_mov_b32_e32 v32, s17
	v_add_co_u32_e32 v48, vcc, s16, v24
	v_addc_co_u32_e32 v49, vcc, v32, v25, vcc
	s_mov_b64 s[30:31], 0
                                        ; implicit-def: $sgpr28_sgpr29
                                        ; implicit-def: $sgpr36_sgpr37
                                        ; implicit-def: $sgpr34_sgpr35
	s_branch .LBB4_160
.LBB4_159:                              ;   in Loop: Header=BB4_160 Depth=2
	s_or_b64 exec, exec, s[38:39]
	s_and_b64 s[38:39], exec, s[36:37]
	s_or_b64 s[30:31], s[38:39], s[30:31]
	s_andn2_b64 s[28:29], s[28:29], exec
	s_and_b64 s[38:39], s[34:35], exec
	s_or_b64 s[28:29], s[28:29], s[38:39]
	s_andn2_b64 exec, exec, s[30:31]
	s_cbranch_execz .LBB4_162
.LBB4_160:                              ;   Parent Loop BB4_122 Depth=1
                                        ; =>  This Inner Loop Header: Depth=2
	v_mov_b32_e32 v24, v26
	v_mov_b32_e32 v25, v27
	global_load_dword v26, v[48:49], off
	s_or_b64 s[34:35], s[34:35], exec
	s_or_b64 s[36:37], s[36:37], exec
	s_waitcnt vmcnt(0)
	v_cmp_ne_u32_e32 vcc, v26, v43
                                        ; implicit-def: $vgpr26_vgpr27
	s_and_saveexec_b64 s[38:39], vcc
	s_cbranch_execz .LBB4_159
; %bb.161:                              ;   in Loop: Header=BB4_160 Depth=2
	v_add_co_u32_e32 v26, vcc, 1, v24
	v_addc_co_u32_e32 v27, vcc, 0, v25, vcc
	v_add_co_u32_e32 v48, vcc, 4, v48
	v_addc_co_u32_e32 v49, vcc, 0, v49, vcc
	v_cmp_ge_i32_e32 vcc, v26, v31
	s_andn2_b64 s[36:37], s[36:37], exec
	s_and_b64 s[40:41], vcc, exec
	s_andn2_b64 s[34:35], s[34:35], exec
	s_or_b64 s[36:37], s[36:37], s[40:41]
	s_branch .LBB4_159
.LBB4_162:                              ;   in Loop: Header=BB4_122 Depth=1
	s_or_b64 exec, exec, s[30:31]
	s_and_saveexec_b64 s[30:31], s[28:29]
	s_xor_b64 s[28:29], exec, s[30:31]
	s_cbranch_execz .LBB4_164
; %bb.163:                              ;   in Loop: Header=BB4_122 Depth=1
	v_lshlrev_b64 v[24:25], 3, v[24:25]
	v_mov_b32_e32 v26, s21
	v_add_co_u32_e32 v24, vcc, s20, v24
	v_addc_co_u32_e32 v25, vcc, v26, v25, vcc
	global_load_dwordx2 v[24:25], v[24:25], off
	v_add_u32_e32 v30, 1, v30
	s_waitcnt vmcnt(0)
	v_div_scale_f64 v[26:27], s[30:31], v[12:13], v[12:13], v[24:25]
	v_div_scale_f64 v[48:49], vcc, v[24:25], v[12:13], v[24:25]
	v_rcp_f64_e32 v[31:32], v[26:27]
	v_fma_f64 v[33:34], -v[26:27], v[31:32], 1.0
	v_fma_f64 v[31:32], v[31:32], v[33:34], v[31:32]
	v_fma_f64 v[33:34], -v[26:27], v[31:32], 1.0
	v_fma_f64 v[31:32], v[31:32], v[33:34], v[31:32]
	v_mul_f64 v[33:34], v[48:49], v[31:32]
	v_fma_f64 v[26:27], -v[26:27], v[33:34], v[48:49]
	v_div_fmas_f64 v[26:27], v[26:27], v[31:32], v[33:34]
	v_div_fixup_f64 v[24:25], v[26:27], v[12:13], v[24:25]
	v_add_f64 v[16:17], v[16:17], v[24:25]
.LBB4_164:                              ;   in Loop: Header=BB4_122 Depth=1
	s_or_b64 exec, exec, s[28:29]
.LBB4_165:                              ;   in Loop: Header=BB4_122 Depth=1
	s_or_b64 exec, exec, s[26:27]
	s_or_b64 exec, exec, s[22:23]
	s_and_saveexec_b64 s[22:23], s[6:7]
	s_xor_b64 s[22:23], exec, s[22:23]
	s_cbranch_execz .LBB4_129
.LBB4_166:                              ;   in Loop: Header=BB4_122 Depth=1
	buffer_load_dword v24, off, s[44:47], 0 offset:60 ; 4-byte Folded Reload
	s_waitcnt vmcnt(0)
	v_cmp_eq_u32_e32 vcc, v43, v24
	s_and_saveexec_b64 s[26:27], vcc
	s_cbranch_execz .LBB4_168
; %bb.167:                              ;   in Loop: Header=BB4_122 Depth=1
	buffer_load_dword v24, off, s[44:47], 0 offset:88 ; 4-byte Folded Reload
	buffer_load_dword v25, off, s[44:47], 0 offset:92 ; 4-byte Folded Reload
	v_add_u32_e32 v30, 1, v30
	s_waitcnt vmcnt(0)
	global_load_dwordx2 v[24:25], v[24:25], off
	s_waitcnt vmcnt(0)
	v_div_scale_f64 v[26:27], s[28:29], v[10:11], v[10:11], v[24:25]
	v_div_scale_f64 v[48:49], vcc, v[24:25], v[10:11], v[24:25]
	v_rcp_f64_e32 v[31:32], v[26:27]
	v_fma_f64 v[33:34], -v[26:27], v[31:32], 1.0
	v_fma_f64 v[31:32], v[31:32], v[33:34], v[31:32]
	v_fma_f64 v[33:34], -v[26:27], v[31:32], 1.0
	v_fma_f64 v[31:32], v[31:32], v[33:34], v[31:32]
	v_mul_f64 v[33:34], v[48:49], v[31:32]
	v_fma_f64 v[26:27], -v[26:27], v[33:34], v[48:49]
	v_div_fmas_f64 v[26:27], v[26:27], v[31:32], v[33:34]
	v_div_fixup_f64 v[24:25], v[26:27], v[10:11], v[24:25]
	v_add_f64 v[16:17], v[16:17], v[24:25]
.LBB4_168:                              ;   in Loop: Header=BB4_122 Depth=1
	s_or_b64 exec, exec, s[26:27]
	s_andn2_saveexec_b64 s[22:23], s[22:23]
	s_cbranch_execz .LBB4_178
.LBB4_169:                              ;   in Loop: Header=BB4_122 Depth=1
	global_load_dword v26, v[40:41], off
	global_load_dword v31, v[28:29], off
	s_waitcnt vmcnt(0)
	v_cmp_lt_i32_e32 vcc, v26, v31
	s_and_saveexec_b64 s[26:27], vcc
	s_cbranch_execz .LBB4_177
; %bb.170:                              ;   in Loop: Header=BB4_122 Depth=1
	v_ashrrev_i32_e32 v27, 31, v26
	v_lshlrev_b64 v[24:25], 2, v[26:27]
	v_mov_b32_e32 v32, s17
	v_add_co_u32_e32 v48, vcc, s16, v24
	v_addc_co_u32_e32 v49, vcc, v32, v25, vcc
	s_mov_b64 s[30:31], 0
                                        ; implicit-def: $sgpr28_sgpr29
                                        ; implicit-def: $sgpr36_sgpr37
                                        ; implicit-def: $sgpr34_sgpr35
	s_branch .LBB4_172
.LBB4_171:                              ;   in Loop: Header=BB4_172 Depth=2
	s_or_b64 exec, exec, s[38:39]
	s_and_b64 s[38:39], exec, s[36:37]
	s_or_b64 s[30:31], s[38:39], s[30:31]
	s_andn2_b64 s[28:29], s[28:29], exec
	s_and_b64 s[38:39], s[34:35], exec
	s_or_b64 s[28:29], s[28:29], s[38:39]
	s_andn2_b64 exec, exec, s[30:31]
	s_cbranch_execz .LBB4_174
.LBB4_172:                              ;   Parent Loop BB4_122 Depth=1
                                        ; =>  This Inner Loop Header: Depth=2
	v_mov_b32_e32 v24, v26
	v_mov_b32_e32 v25, v27
	global_load_dword v26, v[48:49], off
	s_or_b64 s[34:35], s[34:35], exec
	s_or_b64 s[36:37], s[36:37], exec
	s_waitcnt vmcnt(0)
	v_cmp_ne_u32_e32 vcc, v26, v43
                                        ; implicit-def: $vgpr26_vgpr27
	s_and_saveexec_b64 s[38:39], vcc
	s_cbranch_execz .LBB4_171
; %bb.173:                              ;   in Loop: Header=BB4_172 Depth=2
	v_add_co_u32_e32 v26, vcc, 1, v24
	v_addc_co_u32_e32 v27, vcc, 0, v25, vcc
	v_add_co_u32_e32 v48, vcc, 4, v48
	v_addc_co_u32_e32 v49, vcc, 0, v49, vcc
	v_cmp_ge_i32_e32 vcc, v26, v31
	s_andn2_b64 s[36:37], s[36:37], exec
	s_and_b64 s[40:41], vcc, exec
	s_andn2_b64 s[34:35], s[34:35], exec
	s_or_b64 s[36:37], s[36:37], s[40:41]
	s_branch .LBB4_171
.LBB4_174:                              ;   in Loop: Header=BB4_122 Depth=1
	s_or_b64 exec, exec, s[30:31]
	s_and_saveexec_b64 s[30:31], s[28:29]
	s_xor_b64 s[28:29], exec, s[30:31]
	s_cbranch_execz .LBB4_176
; %bb.175:                              ;   in Loop: Header=BB4_122 Depth=1
	v_lshlrev_b64 v[24:25], 3, v[24:25]
	v_mov_b32_e32 v26, s21
	v_add_co_u32_e32 v24, vcc, s20, v24
	v_addc_co_u32_e32 v25, vcc, v26, v25, vcc
	global_load_dwordx2 v[24:25], v[24:25], off
	v_add_u32_e32 v30, 1, v30
	s_waitcnt vmcnt(0)
	v_div_scale_f64 v[26:27], s[30:31], v[10:11], v[10:11], v[24:25]
	v_div_scale_f64 v[48:49], vcc, v[24:25], v[10:11], v[24:25]
	v_rcp_f64_e32 v[31:32], v[26:27]
	v_fma_f64 v[33:34], -v[26:27], v[31:32], 1.0
	v_fma_f64 v[31:32], v[31:32], v[33:34], v[31:32]
	v_fma_f64 v[33:34], -v[26:27], v[31:32], 1.0
	v_fma_f64 v[31:32], v[31:32], v[33:34], v[31:32]
	v_mul_f64 v[33:34], v[48:49], v[31:32]
	v_fma_f64 v[26:27], -v[26:27], v[33:34], v[48:49]
	v_div_fmas_f64 v[26:27], v[26:27], v[31:32], v[33:34]
	v_div_fixup_f64 v[24:25], v[26:27], v[10:11], v[24:25]
	v_add_f64 v[16:17], v[16:17], v[24:25]
.LBB4_176:                              ;   in Loop: Header=BB4_122 Depth=1
	s_or_b64 exec, exec, s[28:29]
.LBB4_177:                              ;   in Loop: Header=BB4_122 Depth=1
	s_or_b64 exec, exec, s[26:27]
.LBB4_178:                              ;   in Loop: Header=BB4_122 Depth=1
	s_or_b64 exec, exec, s[22:23]
	v_mov_b32_e32 v27, v23
	v_mov_b32_e32 v49, v39
	s_mov_b64 s[26:27], 0
	v_mov_b32_e32 v26, v22
	v_mov_b32_e32 v48, v38
                                        ; implicit-def: $sgpr22_sgpr23
                                        ; implicit-def: $sgpr30_sgpr31
                                        ; implicit-def: $sgpr28_sgpr29
	s_branch .LBB4_180
.LBB4_179:                              ;   in Loop: Header=BB4_180 Depth=2
	s_or_b64 exec, exec, s[34:35]
	s_and_b64 s[34:35], exec, s[30:31]
	s_or_b64 s[26:27], s[34:35], s[26:27]
	s_andn2_b64 s[22:23], s[22:23], exec
	s_and_b64 s[34:35], s[28:29], exec
	s_or_b64 s[22:23], s[22:23], s[34:35]
	s_andn2_b64 exec, exec, s[26:27]
	s_cbranch_execz .LBB4_182
.LBB4_180:                              ;   Parent Loop BB4_122 Depth=1
                                        ; =>  This Inner Loop Header: Depth=2
	global_load_dword v31, v[26:27], off
	v_mov_b32_e32 v24, v48
	v_mov_b32_e32 v25, v49
	s_or_b64 s[28:29], s[28:29], exec
	s_or_b64 s[30:31], s[30:31], exec
                                        ; implicit-def: $vgpr48_vgpr49
	s_waitcnt vmcnt(0)
	v_cmp_ne_u32_e32 vcc, v31, v43
	s_and_saveexec_b64 s[34:35], vcc
	s_cbranch_execz .LBB4_179
; %bb.181:                              ;   in Loop: Header=BB4_180 Depth=2
	v_add_co_u32_e32 v48, vcc, 1, v24
	v_addc_co_u32_e32 v49, vcc, 0, v25, vcc
	v_add_co_u32_e32 v26, vcc, 4, v26
	v_addc_co_u32_e32 v27, vcc, 0, v27, vcc
	v_cmp_ge_i32_e32 vcc, v48, v42
	s_andn2_b64 s[30:31], s[30:31], exec
	s_and_b64 s[36:37], vcc, exec
	s_andn2_b64 s[28:29], s[28:29], exec
	s_or_b64 s[30:31], s[30:31], s[36:37]
	s_branch .LBB4_179
.LBB4_182:                              ;   in Loop: Header=BB4_122 Depth=1
	s_or_b64 exec, exec, s[26:27]
	s_and_saveexec_b64 s[26:27], s[22:23]
	s_xor_b64 s[22:23], exec, s[26:27]
	s_cbranch_execnz .LBB4_191
; %bb.183:                              ;   in Loop: Header=BB4_122 Depth=1
	s_or_b64 exec, exec, s[22:23]
	s_and_saveexec_b64 s[22:23], s[8:9]
	s_xor_b64 s[22:23], exec, s[22:23]
	s_cbranch_execnz .LBB4_192
.LBB4_184:                              ;   in Loop: Header=BB4_122 Depth=1
	s_andn2_saveexec_b64 s[22:23], s[22:23]
	s_cbranch_execnz .LBB4_195
.LBB4_185:                              ;   in Loop: Header=BB4_122 Depth=1
	s_or_b64 exec, exec, s[22:23]
	s_and_saveexec_b64 s[22:23], s[10:11]
	s_xor_b64 s[22:23], exec, s[22:23]
	s_cbranch_execnz .LBB4_204
.LBB4_186:                              ;   in Loop: Header=BB4_122 Depth=1
	s_andn2_saveexec_b64 s[22:23], s[22:23]
	s_cbranch_execnz .LBB4_207
.LBB4_187:                              ;   in Loop: Header=BB4_122 Depth=1
	s_or_b64 exec, exec, s[22:23]
	s_and_saveexec_b64 s[22:23], s[12:13]
	s_xor_b64 s[22:23], exec, s[22:23]
	s_cbranch_execnz .LBB4_216
.LBB4_188:                              ;   in Loop: Header=BB4_122 Depth=1
	s_andn2_saveexec_b64 s[22:23], s[22:23]
	s_cbranch_execnz .LBB4_219
.LBB4_189:                              ;   in Loop: Header=BB4_122 Depth=1
	s_or_b64 exec, exec, s[22:23]
	s_and_saveexec_b64 s[22:23], s[14:15]
	s_xor_b64 s[22:23], exec, s[22:23]
	s_cbranch_execnz .LBB4_228
.LBB4_190:                              ;   in Loop: Header=BB4_122 Depth=1
	s_andn2_saveexec_b64 s[22:23], s[22:23]
	s_cbranch_execz .LBB4_121
	s_branch .LBB4_231
.LBB4_191:                              ;   in Loop: Header=BB4_122 Depth=1
	v_lshlrev_b64 v[24:25], 3, v[24:25]
	v_mov_b32_e32 v26, s21
	v_add_co_u32_e32 v24, vcc, s20, v24
	v_addc_co_u32_e32 v25, vcc, v26, v25, vcc
	global_load_dwordx2 v[24:25], v[24:25], off
	v_add_u32_e32 v30, 1, v30
	s_waitcnt vmcnt(0)
	v_div_scale_f64 v[26:27], s[26:27], v[8:9], v[8:9], v[24:25]
	v_div_scale_f64 v[48:49], vcc, v[24:25], v[8:9], v[24:25]
	v_rcp_f64_e32 v[31:32], v[26:27]
	v_fma_f64 v[33:34], -v[26:27], v[31:32], 1.0
	v_fma_f64 v[31:32], v[31:32], v[33:34], v[31:32]
	v_fma_f64 v[33:34], -v[26:27], v[31:32], 1.0
	v_fma_f64 v[31:32], v[31:32], v[33:34], v[31:32]
	v_mul_f64 v[33:34], v[48:49], v[31:32]
	v_fma_f64 v[26:27], -v[26:27], v[33:34], v[48:49]
	v_div_fmas_f64 v[26:27], v[26:27], v[31:32], v[33:34]
	v_div_fixup_f64 v[24:25], v[26:27], v[8:9], v[24:25]
	v_add_f64 v[16:17], v[16:17], v[24:25]
	s_or_b64 exec, exec, s[22:23]
	s_and_saveexec_b64 s[22:23], s[8:9]
	s_xor_b64 s[22:23], exec, s[22:23]
	s_cbranch_execz .LBB4_184
.LBB4_192:                              ;   in Loop: Header=BB4_122 Depth=1
	buffer_load_dword v24, off, s[44:47], 0 offset:64 ; 4-byte Folded Reload
	s_waitcnt vmcnt(0)
	v_cmp_eq_u32_e32 vcc, v43, v24
	s_and_saveexec_b64 s[26:27], vcc
	s_cbranch_execz .LBB4_194
; %bb.193:                              ;   in Loop: Header=BB4_122 Depth=1
	buffer_load_dword v24, off, s[44:47], 0 offset:96 ; 4-byte Folded Reload
	buffer_load_dword v25, off, s[44:47], 0 offset:100 ; 4-byte Folded Reload
	v_add_u32_e32 v30, 1, v30
	s_waitcnt vmcnt(0)
	global_load_dwordx2 v[24:25], v[24:25], off offset:8
	s_waitcnt vmcnt(0)
	v_div_scale_f64 v[26:27], s[28:29], v[6:7], v[6:7], v[24:25]
	v_div_scale_f64 v[48:49], vcc, v[24:25], v[6:7], v[24:25]
	v_rcp_f64_e32 v[31:32], v[26:27]
	v_fma_f64 v[33:34], -v[26:27], v[31:32], 1.0
	v_fma_f64 v[31:32], v[31:32], v[33:34], v[31:32]
	v_fma_f64 v[33:34], -v[26:27], v[31:32], 1.0
	v_fma_f64 v[31:32], v[31:32], v[33:34], v[31:32]
	v_mul_f64 v[33:34], v[48:49], v[31:32]
	v_fma_f64 v[26:27], -v[26:27], v[33:34], v[48:49]
	v_div_fmas_f64 v[26:27], v[26:27], v[31:32], v[33:34]
	v_div_fixup_f64 v[24:25], v[26:27], v[6:7], v[24:25]
	v_add_f64 v[16:17], v[16:17], v[24:25]
.LBB4_194:                              ;   in Loop: Header=BB4_122 Depth=1
	s_or_b64 exec, exec, s[26:27]
	s_andn2_saveexec_b64 s[22:23], s[22:23]
	s_cbranch_execz .LBB4_185
.LBB4_195:                              ;   in Loop: Header=BB4_122 Depth=1
	global_load_dword v26, v[44:45], off
	global_load_dword v31, v[46:47], off
	s_waitcnt vmcnt(0)
	v_cmp_lt_i32_e32 vcc, v26, v31
	s_and_saveexec_b64 s[26:27], vcc
	s_cbranch_execz .LBB4_203
; %bb.196:                              ;   in Loop: Header=BB4_122 Depth=1
	v_ashrrev_i32_e32 v27, 31, v26
	v_lshlrev_b64 v[24:25], 2, v[26:27]
	v_mov_b32_e32 v32, s17
	v_add_co_u32_e32 v48, vcc, s16, v24
	v_addc_co_u32_e32 v49, vcc, v32, v25, vcc
	s_mov_b64 s[30:31], 0
                                        ; implicit-def: $sgpr28_sgpr29
                                        ; implicit-def: $sgpr36_sgpr37
                                        ; implicit-def: $sgpr34_sgpr35
	s_branch .LBB4_198
.LBB4_197:                              ;   in Loop: Header=BB4_198 Depth=2
	s_or_b64 exec, exec, s[38:39]
	s_and_b64 s[38:39], exec, s[36:37]
	s_or_b64 s[30:31], s[38:39], s[30:31]
	s_andn2_b64 s[28:29], s[28:29], exec
	s_and_b64 s[38:39], s[34:35], exec
	s_or_b64 s[28:29], s[28:29], s[38:39]
	s_andn2_b64 exec, exec, s[30:31]
	s_cbranch_execz .LBB4_200
.LBB4_198:                              ;   Parent Loop BB4_122 Depth=1
                                        ; =>  This Inner Loop Header: Depth=2
	v_mov_b32_e32 v24, v26
	v_mov_b32_e32 v25, v27
	global_load_dword v26, v[48:49], off
	s_or_b64 s[34:35], s[34:35], exec
	s_or_b64 s[36:37], s[36:37], exec
	s_waitcnt vmcnt(0)
	v_cmp_ne_u32_e32 vcc, v26, v43
                                        ; implicit-def: $vgpr26_vgpr27
	s_and_saveexec_b64 s[38:39], vcc
	s_cbranch_execz .LBB4_197
; %bb.199:                              ;   in Loop: Header=BB4_198 Depth=2
	v_add_co_u32_e32 v26, vcc, 1, v24
	v_addc_co_u32_e32 v27, vcc, 0, v25, vcc
	v_add_co_u32_e32 v48, vcc, 4, v48
	v_addc_co_u32_e32 v49, vcc, 0, v49, vcc
	v_cmp_ge_i32_e32 vcc, v26, v31
	s_andn2_b64 s[36:37], s[36:37], exec
	s_and_b64 s[40:41], vcc, exec
	s_andn2_b64 s[34:35], s[34:35], exec
	s_or_b64 s[36:37], s[36:37], s[40:41]
	s_branch .LBB4_197
.LBB4_200:                              ;   in Loop: Header=BB4_122 Depth=1
	s_or_b64 exec, exec, s[30:31]
	s_and_saveexec_b64 s[30:31], s[28:29]
	s_xor_b64 s[28:29], exec, s[30:31]
	s_cbranch_execz .LBB4_202
; %bb.201:                              ;   in Loop: Header=BB4_122 Depth=1
	v_lshlrev_b64 v[24:25], 3, v[24:25]
	v_mov_b32_e32 v26, s21
	v_add_co_u32_e32 v24, vcc, s20, v24
	v_addc_co_u32_e32 v25, vcc, v26, v25, vcc
	global_load_dwordx2 v[24:25], v[24:25], off
	v_add_u32_e32 v30, 1, v30
	s_waitcnt vmcnt(0)
	v_div_scale_f64 v[26:27], s[30:31], v[6:7], v[6:7], v[24:25]
	v_div_scale_f64 v[48:49], vcc, v[24:25], v[6:7], v[24:25]
	v_rcp_f64_e32 v[31:32], v[26:27]
	v_fma_f64 v[33:34], -v[26:27], v[31:32], 1.0
	v_fma_f64 v[31:32], v[31:32], v[33:34], v[31:32]
	v_fma_f64 v[33:34], -v[26:27], v[31:32], 1.0
	v_fma_f64 v[31:32], v[31:32], v[33:34], v[31:32]
	v_mul_f64 v[33:34], v[48:49], v[31:32]
	v_fma_f64 v[26:27], -v[26:27], v[33:34], v[48:49]
	v_div_fmas_f64 v[26:27], v[26:27], v[31:32], v[33:34]
	v_div_fixup_f64 v[24:25], v[26:27], v[6:7], v[24:25]
	v_add_f64 v[16:17], v[16:17], v[24:25]
.LBB4_202:                              ;   in Loop: Header=BB4_122 Depth=1
	s_or_b64 exec, exec, s[28:29]
.LBB4_203:                              ;   in Loop: Header=BB4_122 Depth=1
	s_or_b64 exec, exec, s[26:27]
	s_or_b64 exec, exec, s[22:23]
	s_and_saveexec_b64 s[22:23], s[10:11]
	s_xor_b64 s[22:23], exec, s[22:23]
	s_cbranch_execz .LBB4_186
.LBB4_204:                              ;   in Loop: Header=BB4_122 Depth=1
	buffer_load_dword v24, off, s[44:47], 0 offset:68 ; 4-byte Folded Reload
	s_waitcnt vmcnt(0)
	v_cmp_eq_u32_e32 vcc, v43, v24
	s_and_saveexec_b64 s[26:27], vcc
	s_cbranch_execz .LBB4_206
; %bb.205:                              ;   in Loop: Header=BB4_122 Depth=1
	buffer_load_dword v24, off, s[44:47], 0 offset:104 ; 4-byte Folded Reload
	buffer_load_dword v25, off, s[44:47], 0 offset:108 ; 4-byte Folded Reload
	v_add_u32_e32 v30, 1, v30
	s_waitcnt vmcnt(0)
	global_load_dwordx2 v[24:25], v[24:25], off
	s_waitcnt vmcnt(0)
	v_div_scale_f64 v[26:27], s[28:29], v[4:5], v[4:5], v[24:25]
	v_div_scale_f64 v[48:49], vcc, v[24:25], v[4:5], v[24:25]
	v_rcp_f64_e32 v[31:32], v[26:27]
	v_fma_f64 v[33:34], -v[26:27], v[31:32], 1.0
	v_fma_f64 v[31:32], v[31:32], v[33:34], v[31:32]
	v_fma_f64 v[33:34], -v[26:27], v[31:32], 1.0
	v_fma_f64 v[31:32], v[31:32], v[33:34], v[31:32]
	v_mul_f64 v[33:34], v[48:49], v[31:32]
	v_fma_f64 v[26:27], -v[26:27], v[33:34], v[48:49]
	v_div_fmas_f64 v[26:27], v[26:27], v[31:32], v[33:34]
	v_div_fixup_f64 v[24:25], v[26:27], v[4:5], v[24:25]
	v_add_f64 v[16:17], v[16:17], v[24:25]
.LBB4_206:                              ;   in Loop: Header=BB4_122 Depth=1
	s_or_b64 exec, exec, s[26:27]
	s_andn2_saveexec_b64 s[22:23], s[22:23]
	s_cbranch_execz .LBB4_187
.LBB4_207:                              ;   in Loop: Header=BB4_122 Depth=1
	global_load_dword v26, v[50:51], off
	global_load_dword v31, v[52:53], off
	s_waitcnt vmcnt(0)
	v_cmp_lt_i32_e32 vcc, v26, v31
	s_and_saveexec_b64 s[26:27], vcc
	s_cbranch_execz .LBB4_215
; %bb.208:                              ;   in Loop: Header=BB4_122 Depth=1
	v_ashrrev_i32_e32 v27, 31, v26
	v_lshlrev_b64 v[24:25], 2, v[26:27]
	v_mov_b32_e32 v32, s17
	v_add_co_u32_e32 v48, vcc, s16, v24
	v_addc_co_u32_e32 v49, vcc, v32, v25, vcc
	s_mov_b64 s[30:31], 0
                                        ; implicit-def: $sgpr28_sgpr29
                                        ; implicit-def: $sgpr36_sgpr37
                                        ; implicit-def: $sgpr34_sgpr35
	s_branch .LBB4_210
.LBB4_209:                              ;   in Loop: Header=BB4_210 Depth=2
	s_or_b64 exec, exec, s[38:39]
	s_and_b64 s[38:39], exec, s[36:37]
	s_or_b64 s[30:31], s[38:39], s[30:31]
	s_andn2_b64 s[28:29], s[28:29], exec
	s_and_b64 s[38:39], s[34:35], exec
	s_or_b64 s[28:29], s[28:29], s[38:39]
	s_andn2_b64 exec, exec, s[30:31]
	s_cbranch_execz .LBB4_212
.LBB4_210:                              ;   Parent Loop BB4_122 Depth=1
                                        ; =>  This Inner Loop Header: Depth=2
	v_mov_b32_e32 v24, v26
	v_mov_b32_e32 v25, v27
	global_load_dword v26, v[48:49], off
	s_or_b64 s[34:35], s[34:35], exec
	s_or_b64 s[36:37], s[36:37], exec
	s_waitcnt vmcnt(0)
	v_cmp_ne_u32_e32 vcc, v26, v43
                                        ; implicit-def: $vgpr26_vgpr27
	s_and_saveexec_b64 s[38:39], vcc
	s_cbranch_execz .LBB4_209
; %bb.211:                              ;   in Loop: Header=BB4_210 Depth=2
	v_add_co_u32_e32 v26, vcc, 1, v24
	v_addc_co_u32_e32 v27, vcc, 0, v25, vcc
	v_add_co_u32_e32 v48, vcc, 4, v48
	v_addc_co_u32_e32 v49, vcc, 0, v49, vcc
	v_cmp_ge_i32_e32 vcc, v26, v31
	s_andn2_b64 s[36:37], s[36:37], exec
	s_and_b64 s[40:41], vcc, exec
	s_andn2_b64 s[34:35], s[34:35], exec
	s_or_b64 s[36:37], s[36:37], s[40:41]
	s_branch .LBB4_209
.LBB4_212:                              ;   in Loop: Header=BB4_122 Depth=1
	s_or_b64 exec, exec, s[30:31]
	s_and_saveexec_b64 s[30:31], s[28:29]
	s_xor_b64 s[28:29], exec, s[30:31]
	s_cbranch_execz .LBB4_214
; %bb.213:                              ;   in Loop: Header=BB4_122 Depth=1
	v_lshlrev_b64 v[24:25], 3, v[24:25]
	v_mov_b32_e32 v26, s21
	v_add_co_u32_e32 v24, vcc, s20, v24
	v_addc_co_u32_e32 v25, vcc, v26, v25, vcc
	global_load_dwordx2 v[24:25], v[24:25], off
	v_add_u32_e32 v30, 1, v30
	s_waitcnt vmcnt(0)
	v_div_scale_f64 v[26:27], s[30:31], v[4:5], v[4:5], v[24:25]
	v_div_scale_f64 v[48:49], vcc, v[24:25], v[4:5], v[24:25]
	v_rcp_f64_e32 v[31:32], v[26:27]
	v_fma_f64 v[33:34], -v[26:27], v[31:32], 1.0
	v_fma_f64 v[31:32], v[31:32], v[33:34], v[31:32]
	v_fma_f64 v[33:34], -v[26:27], v[31:32], 1.0
	v_fma_f64 v[31:32], v[31:32], v[33:34], v[31:32]
	v_mul_f64 v[33:34], v[48:49], v[31:32]
	v_fma_f64 v[26:27], -v[26:27], v[33:34], v[48:49]
	v_div_fmas_f64 v[26:27], v[26:27], v[31:32], v[33:34]
	v_div_fixup_f64 v[24:25], v[26:27], v[4:5], v[24:25]
	v_add_f64 v[16:17], v[16:17], v[24:25]
.LBB4_214:                              ;   in Loop: Header=BB4_122 Depth=1
	s_or_b64 exec, exec, s[28:29]
.LBB4_215:                              ;   in Loop: Header=BB4_122 Depth=1
	s_or_b64 exec, exec, s[26:27]
	s_or_b64 exec, exec, s[22:23]
	s_and_saveexec_b64 s[22:23], s[12:13]
	s_xor_b64 s[22:23], exec, s[22:23]
	s_cbranch_execz .LBB4_188
.LBB4_216:                              ;   in Loop: Header=BB4_122 Depth=1
	buffer_load_dword v24, off, s[44:47], 0 offset:72 ; 4-byte Folded Reload
	s_waitcnt vmcnt(0)
	v_cmp_eq_u32_e32 vcc, v43, v24
	s_and_saveexec_b64 s[26:27], vcc
	s_cbranch_execz .LBB4_218
; %bb.217:                              ;   in Loop: Header=BB4_122 Depth=1
	global_load_dwordx2 v[24:25], v[54:55], off
	v_add_u32_e32 v30, 1, v30
	s_waitcnt vmcnt(0)
	v_div_scale_f64 v[26:27], s[28:29], v[2:3], v[2:3], v[24:25]
	v_div_scale_f64 v[48:49], vcc, v[24:25], v[2:3], v[24:25]
	v_rcp_f64_e32 v[31:32], v[26:27]
	v_fma_f64 v[33:34], -v[26:27], v[31:32], 1.0
	v_fma_f64 v[31:32], v[31:32], v[33:34], v[31:32]
	v_fma_f64 v[33:34], -v[26:27], v[31:32], 1.0
	v_fma_f64 v[31:32], v[31:32], v[33:34], v[31:32]
	v_mul_f64 v[33:34], v[48:49], v[31:32]
	v_fma_f64 v[26:27], -v[26:27], v[33:34], v[48:49]
	v_div_fmas_f64 v[26:27], v[26:27], v[31:32], v[33:34]
	v_div_fixup_f64 v[24:25], v[26:27], v[2:3], v[24:25]
	v_add_f64 v[16:17], v[16:17], v[24:25]
.LBB4_218:                              ;   in Loop: Header=BB4_122 Depth=1
	s_or_b64 exec, exec, s[26:27]
	s_andn2_saveexec_b64 s[22:23], s[22:23]
	s_cbranch_execz .LBB4_189
.LBB4_219:                              ;   in Loop: Header=BB4_122 Depth=1
	global_load_dword v26, v[56:57], off
	global_load_dword v31, v[58:59], off
	s_waitcnt vmcnt(0)
	v_cmp_lt_i32_e32 vcc, v26, v31
	s_and_saveexec_b64 s[26:27], vcc
	s_cbranch_execz .LBB4_227
; %bb.220:                              ;   in Loop: Header=BB4_122 Depth=1
	v_ashrrev_i32_e32 v27, 31, v26
	v_lshlrev_b64 v[24:25], 2, v[26:27]
	v_mov_b32_e32 v32, s17
	v_add_co_u32_e32 v48, vcc, s16, v24
	v_addc_co_u32_e32 v49, vcc, v32, v25, vcc
	s_mov_b64 s[30:31], 0
                                        ; implicit-def: $sgpr28_sgpr29
                                        ; implicit-def: $sgpr36_sgpr37
                                        ; implicit-def: $sgpr34_sgpr35
	s_branch .LBB4_222
.LBB4_221:                              ;   in Loop: Header=BB4_222 Depth=2
	s_or_b64 exec, exec, s[38:39]
	s_and_b64 s[38:39], exec, s[36:37]
	s_or_b64 s[30:31], s[38:39], s[30:31]
	s_andn2_b64 s[28:29], s[28:29], exec
	s_and_b64 s[38:39], s[34:35], exec
	s_or_b64 s[28:29], s[28:29], s[38:39]
	s_andn2_b64 exec, exec, s[30:31]
	s_cbranch_execz .LBB4_224
.LBB4_222:                              ;   Parent Loop BB4_122 Depth=1
                                        ; =>  This Inner Loop Header: Depth=2
	v_mov_b32_e32 v24, v26
	v_mov_b32_e32 v25, v27
	global_load_dword v26, v[48:49], off
	s_or_b64 s[34:35], s[34:35], exec
	s_or_b64 s[36:37], s[36:37], exec
	s_waitcnt vmcnt(0)
	v_cmp_ne_u32_e32 vcc, v26, v43
                                        ; implicit-def: $vgpr26_vgpr27
	s_and_saveexec_b64 s[38:39], vcc
	s_cbranch_execz .LBB4_221
; %bb.223:                              ;   in Loop: Header=BB4_222 Depth=2
	v_add_co_u32_e32 v26, vcc, 1, v24
	v_addc_co_u32_e32 v27, vcc, 0, v25, vcc
	v_add_co_u32_e32 v48, vcc, 4, v48
	v_addc_co_u32_e32 v49, vcc, 0, v49, vcc
	v_cmp_ge_i32_e32 vcc, v26, v31
	s_andn2_b64 s[36:37], s[36:37], exec
	s_and_b64 s[40:41], vcc, exec
	s_andn2_b64 s[34:35], s[34:35], exec
	s_or_b64 s[36:37], s[36:37], s[40:41]
	s_branch .LBB4_221
.LBB4_224:                              ;   in Loop: Header=BB4_122 Depth=1
	s_or_b64 exec, exec, s[30:31]
	s_and_saveexec_b64 s[30:31], s[28:29]
	s_xor_b64 s[28:29], exec, s[30:31]
	s_cbranch_execz .LBB4_226
; %bb.225:                              ;   in Loop: Header=BB4_122 Depth=1
	v_lshlrev_b64 v[24:25], 3, v[24:25]
	v_mov_b32_e32 v26, s21
	v_add_co_u32_e32 v24, vcc, s20, v24
	v_addc_co_u32_e32 v25, vcc, v26, v25, vcc
	global_load_dwordx2 v[24:25], v[24:25], off
	v_add_u32_e32 v30, 1, v30
	s_waitcnt vmcnt(0)
	v_div_scale_f64 v[26:27], s[30:31], v[2:3], v[2:3], v[24:25]
	v_div_scale_f64 v[48:49], vcc, v[24:25], v[2:3], v[24:25]
	v_rcp_f64_e32 v[31:32], v[26:27]
	v_fma_f64 v[33:34], -v[26:27], v[31:32], 1.0
	v_fma_f64 v[31:32], v[31:32], v[33:34], v[31:32]
	v_fma_f64 v[33:34], -v[26:27], v[31:32], 1.0
	v_fma_f64 v[31:32], v[31:32], v[33:34], v[31:32]
	v_mul_f64 v[33:34], v[48:49], v[31:32]
	v_fma_f64 v[26:27], -v[26:27], v[33:34], v[48:49]
	v_div_fmas_f64 v[26:27], v[26:27], v[31:32], v[33:34]
	v_div_fixup_f64 v[24:25], v[26:27], v[2:3], v[24:25]
	v_add_f64 v[16:17], v[16:17], v[24:25]
.LBB4_226:                              ;   in Loop: Header=BB4_122 Depth=1
	s_or_b64 exec, exec, s[28:29]
.LBB4_227:                              ;   in Loop: Header=BB4_122 Depth=1
	s_or_b64 exec, exec, s[26:27]
	s_or_b64 exec, exec, s[22:23]
	s_and_saveexec_b64 s[22:23], s[14:15]
	s_xor_b64 s[22:23], exec, s[22:23]
	s_cbranch_execz .LBB4_190
.LBB4_228:                              ;   in Loop: Header=BB4_122 Depth=1
	buffer_load_dword v24, off, s[44:47], 0 offset:76 ; 4-byte Folded Reload
	s_waitcnt vmcnt(0)
	v_cmp_eq_u32_e32 vcc, v43, v24
	s_and_saveexec_b64 s[26:27], vcc
	s_cbranch_execz .LBB4_230
; %bb.229:                              ;   in Loop: Header=BB4_122 Depth=1
	global_load_dwordx2 v[24:25], v[54:55], off offset:8
	v_add_u32_e32 v30, 1, v30
	s_waitcnt vmcnt(0)
	v_div_scale_f64 v[26:27], s[28:29], v[0:1], v[0:1], v[24:25]
	v_div_scale_f64 v[48:49], vcc, v[24:25], v[0:1], v[24:25]
	v_rcp_f64_e32 v[31:32], v[26:27]
	v_fma_f64 v[33:34], -v[26:27], v[31:32], 1.0
	v_fma_f64 v[31:32], v[31:32], v[33:34], v[31:32]
	v_fma_f64 v[33:34], -v[26:27], v[31:32], 1.0
	v_fma_f64 v[31:32], v[31:32], v[33:34], v[31:32]
	v_mul_f64 v[33:34], v[48:49], v[31:32]
	v_fma_f64 v[26:27], -v[26:27], v[33:34], v[48:49]
	v_div_fmas_f64 v[26:27], v[26:27], v[31:32], v[33:34]
	v_div_fixup_f64 v[24:25], v[26:27], v[0:1], v[24:25]
	v_add_f64 v[16:17], v[16:17], v[24:25]
.LBB4_230:                              ;   in Loop: Header=BB4_122 Depth=1
	s_or_b64 exec, exec, s[26:27]
                                        ; implicit-def: $vgpr43
	s_andn2_saveexec_b64 s[22:23], s[22:23]
	s_cbranch_execz .LBB4_121
.LBB4_231:                              ;   in Loop: Header=BB4_122 Depth=1
	global_load_dword v26, v[60:61], off
	global_load_dword v31, v[62:63], off
	s_waitcnt vmcnt(0)
	v_cmp_lt_i32_e32 vcc, v26, v31
	s_and_saveexec_b64 s[26:27], vcc
	s_cbranch_execz .LBB4_120
; %bb.232:                              ;   in Loop: Header=BB4_122 Depth=1
	v_ashrrev_i32_e32 v27, 31, v26
	v_lshlrev_b64 v[24:25], 2, v[26:27]
	v_mov_b32_e32 v32, s17
	v_add_co_u32_e32 v48, vcc, s16, v24
	v_addc_co_u32_e32 v49, vcc, v32, v25, vcc
	s_mov_b64 s[30:31], 0
                                        ; implicit-def: $sgpr28_sgpr29
                                        ; implicit-def: $sgpr36_sgpr37
                                        ; implicit-def: $sgpr34_sgpr35
	s_branch .LBB4_234
.LBB4_233:                              ;   in Loop: Header=BB4_234 Depth=2
	s_or_b64 exec, exec, s[38:39]
	s_and_b64 s[38:39], exec, s[36:37]
	s_or_b64 s[30:31], s[38:39], s[30:31]
	s_andn2_b64 s[28:29], s[28:29], exec
	s_and_b64 s[38:39], s[34:35], exec
	s_or_b64 s[28:29], s[28:29], s[38:39]
	s_andn2_b64 exec, exec, s[30:31]
	s_cbranch_execz .LBB4_236
.LBB4_234:                              ;   Parent Loop BB4_122 Depth=1
                                        ; =>  This Inner Loop Header: Depth=2
	v_mov_b32_e32 v24, v26
	v_mov_b32_e32 v25, v27
	global_load_dword v26, v[48:49], off
	s_or_b64 s[34:35], s[34:35], exec
	s_or_b64 s[36:37], s[36:37], exec
	s_waitcnt vmcnt(0)
	v_cmp_ne_u32_e32 vcc, v26, v43
                                        ; implicit-def: $vgpr26_vgpr27
	s_and_saveexec_b64 s[38:39], vcc
	s_cbranch_execz .LBB4_233
; %bb.235:                              ;   in Loop: Header=BB4_234 Depth=2
	v_add_co_u32_e32 v26, vcc, 1, v24
	v_addc_co_u32_e32 v27, vcc, 0, v25, vcc
	v_add_co_u32_e32 v48, vcc, 4, v48
	v_addc_co_u32_e32 v49, vcc, 0, v49, vcc
	v_cmp_ge_i32_e32 vcc, v26, v31
	s_andn2_b64 s[36:37], s[36:37], exec
	s_and_b64 s[40:41], vcc, exec
	s_andn2_b64 s[34:35], s[34:35], exec
	s_or_b64 s[36:37], s[36:37], s[40:41]
	s_branch .LBB4_233
.LBB4_236:                              ;   in Loop: Header=BB4_122 Depth=1
	s_or_b64 exec, exec, s[30:31]
	s_and_saveexec_b64 s[30:31], s[28:29]
	s_xor_b64 s[28:29], exec, s[30:31]
	s_cbranch_execz .LBB4_119
; %bb.237:                              ;   in Loop: Header=BB4_122 Depth=1
	v_lshlrev_b64 v[24:25], 3, v[24:25]
	v_mov_b32_e32 v26, s21
	v_add_co_u32_e32 v24, vcc, s20, v24
	v_addc_co_u32_e32 v25, vcc, v26, v25, vcc
	global_load_dwordx2 v[24:25], v[24:25], off
	v_add_u32_e32 v30, 1, v30
	s_waitcnt vmcnt(0)
	v_div_scale_f64 v[26:27], s[30:31], v[0:1], v[0:1], v[24:25]
	v_div_scale_f64 v[48:49], vcc, v[24:25], v[0:1], v[24:25]
	v_rcp_f64_e32 v[31:32], v[26:27]
	v_fma_f64 v[33:34], -v[26:27], v[31:32], 1.0
	v_fma_f64 v[31:32], v[31:32], v[33:34], v[31:32]
	v_fma_f64 v[33:34], -v[26:27], v[31:32], 1.0
	v_fma_f64 v[31:32], v[31:32], v[33:34], v[31:32]
	v_mul_f64 v[33:34], v[48:49], v[31:32]
	v_fma_f64 v[26:27], -v[26:27], v[33:34], v[48:49]
	v_div_fmas_f64 v[26:27], v[26:27], v[31:32], v[33:34]
	v_div_fixup_f64 v[24:25], v[26:27], v[0:1], v[24:25]
	v_add_f64 v[16:17], v[16:17], v[24:25]
	s_branch .LBB4_119
.LBB4_238:
	s_endpgm
	.section	.rodata,"a",@progbits
	.p2align	6, 0x0
	.amdhsa_kernel _Z9ccc_loop3PKiS0_S0_PKdS2_PdS3_S2_S2_iiPi
		.amdhsa_group_segment_fixed_size 0
		.amdhsa_private_segment_fixed_size 116
		.amdhsa_kernarg_size 344
		.amdhsa_user_sgpr_count 6
		.amdhsa_user_sgpr_private_segment_buffer 1
		.amdhsa_user_sgpr_dispatch_ptr 0
		.amdhsa_user_sgpr_queue_ptr 0
		.amdhsa_user_sgpr_kernarg_segment_ptr 1
		.amdhsa_user_sgpr_dispatch_id 0
		.amdhsa_user_sgpr_flat_scratch_init 0
		.amdhsa_user_sgpr_private_segment_size 0
		.amdhsa_uses_dynamic_stack 0
		.amdhsa_system_sgpr_private_segment_wavefront_offset 1
		.amdhsa_system_sgpr_workgroup_id_x 1
		.amdhsa_system_sgpr_workgroup_id_y 1
		.amdhsa_system_sgpr_workgroup_id_z 0
		.amdhsa_system_sgpr_workgroup_info 0
		.amdhsa_system_vgpr_workitem_id 1
		.amdhsa_next_free_vgpr 64
		.amdhsa_next_free_sgpr 48
		.amdhsa_reserve_vcc 1
		.amdhsa_reserve_flat_scratch 0
		.amdhsa_float_round_mode_32 0
		.amdhsa_float_round_mode_16_64 0
		.amdhsa_float_denorm_mode_32 3
		.amdhsa_float_denorm_mode_16_64 3
		.amdhsa_dx10_clamp 1
		.amdhsa_ieee_mode 1
		.amdhsa_fp16_overflow 0
		.amdhsa_exception_fp_ieee_invalid_op 0
		.amdhsa_exception_fp_denorm_src 0
		.amdhsa_exception_fp_ieee_div_zero 0
		.amdhsa_exception_fp_ieee_overflow 0
		.amdhsa_exception_fp_ieee_underflow 0
		.amdhsa_exception_fp_ieee_inexact 0
		.amdhsa_exception_int_div_zero 0
	.end_amdhsa_kernel
	.text
.Lfunc_end4:
	.size	_Z9ccc_loop3PKiS0_S0_PKdS2_PdS3_S2_S2_iiPi, .Lfunc_end4-_Z9ccc_loop3PKiS0_S0_PKdS2_PdS3_S2_S2_iiPi
                                        ; -- End function
	.set _Z9ccc_loop3PKiS0_S0_PKdS2_PdS3_S2_S2_iiPi.num_vgpr, 64
	.set _Z9ccc_loop3PKiS0_S0_PKdS2_PdS3_S2_S2_iiPi.num_agpr, 0
	.set _Z9ccc_loop3PKiS0_S0_PKdS2_PdS3_S2_S2_iiPi.numbered_sgpr, 48
	.set _Z9ccc_loop3PKiS0_S0_PKdS2_PdS3_S2_S2_iiPi.num_named_barrier, 0
	.set _Z9ccc_loop3PKiS0_S0_PKdS2_PdS3_S2_S2_iiPi.private_seg_size, 116
	.set _Z9ccc_loop3PKiS0_S0_PKdS2_PdS3_S2_S2_iiPi.uses_vcc, 1
	.set _Z9ccc_loop3PKiS0_S0_PKdS2_PdS3_S2_S2_iiPi.uses_flat_scratch, 0
	.set _Z9ccc_loop3PKiS0_S0_PKdS2_PdS3_S2_S2_iiPi.has_dyn_sized_stack, 0
	.set _Z9ccc_loop3PKiS0_S0_PKdS2_PdS3_S2_S2_iiPi.has_recursion, 0
	.set _Z9ccc_loop3PKiS0_S0_PKdS2_PdS3_S2_S2_iiPi.has_indirect_call, 0
	.section	.AMDGPU.csdata,"",@progbits
; Kernel info:
; codeLenInByte = 11832
; TotalNumSgprs: 52
; NumVgprs: 64
; ScratchSize: 116
; MemoryBound: 0
; FloatMode: 240
; IeeeMode: 1
; LDSByteSize: 0 bytes/workgroup (compile time only)
; SGPRBlocks: 6
; VGPRBlocks: 15
; NumSGPRsForWavesPerEU: 52
; NumVGPRsForWavesPerEU: 64
; Occupancy: 4
; WaveLimiterHint : 1
; COMPUTE_PGM_RSRC2:SCRATCH_EN: 1
; COMPUTE_PGM_RSRC2:USER_SGPR: 6
; COMPUTE_PGM_RSRC2:TRAP_HANDLER: 0
; COMPUTE_PGM_RSRC2:TGID_X_EN: 1
; COMPUTE_PGM_RSRC2:TGID_Y_EN: 1
; COMPUTE_PGM_RSRC2:TGID_Z_EN: 0
; COMPUTE_PGM_RSRC2:TIDIG_COMP_CNT: 1
	.section	.AMDGPU.gpr_maximums,"",@progbits
	.set amdgpu.max_num_vgpr, 0
	.set amdgpu.max_num_agpr, 0
	.set amdgpu.max_num_sgpr, 0
	.section	.AMDGPU.csdata,"",@progbits
	.type	__hip_cuid_97f28527ec428793,@object ; @__hip_cuid_97f28527ec428793
	.section	.bss,"aw",@nobits
	.globl	__hip_cuid_97f28527ec428793
__hip_cuid_97f28527ec428793:
	.byte	0                               ; 0x0
	.size	__hip_cuid_97f28527ec428793, 1

	.ident	"AMD clang version 22.0.0git (https://github.com/RadeonOpenCompute/llvm-project roc-7.2.4 26084 f58b06dce1f9c15707c5f808fd002e18c2accf7e)"
	.section	".note.GNU-stack","",@progbits
	.addrsig
	.addrsig_sym __hip_cuid_97f28527ec428793
	.amdgpu_metadata
---
amdhsa.kernels:
  - .args:
      - .actual_access:  read_only
        .address_space:  global
        .offset:         0
        .size:           8
        .value_kind:     global_buffer
      - .actual_access:  read_only
        .address_space:  global
        .offset:         8
        .size:           8
        .value_kind:     global_buffer
      - .actual_access:  read_only
        .address_space:  global
        .offset:         16
        .size:           8
        .value_kind:     global_buffer
      - .actual_access:  read_only
        .address_space:  global
        .offset:         24
        .size:           8
        .value_kind:     global_buffer
      - .actual_access:  read_only
        .address_space:  global
        .offset:         32
        .size:           8
        .value_kind:     global_buffer
      - .actual_access:  read_only
        .address_space:  global
        .offset:         40
        .size:           8
        .value_kind:     global_buffer
      - .actual_access:  write_only
        .address_space:  global
        .offset:         48
        .size:           8
        .value_kind:     global_buffer
      - .offset:         56
        .size:           4
        .value_kind:     by_value
      - .offset:         60
        .size:           4
        .value_kind:     by_value
      - .actual_access:  read_only
        .address_space:  global
        .offset:         64
        .size:           8
        .value_kind:     global_buffer
      - .offset:         72
        .size:           4
        .value_kind:     hidden_block_count_x
      - .offset:         76
        .size:           4
        .value_kind:     hidden_block_count_y
      - .offset:         80
        .size:           4
        .value_kind:     hidden_block_count_z
      - .offset:         84
        .size:           2
        .value_kind:     hidden_group_size_x
      - .offset:         86
        .size:           2
        .value_kind:     hidden_group_size_y
      - .offset:         88
        .size:           2
        .value_kind:     hidden_group_size_z
      - .offset:         90
        .size:           2
        .value_kind:     hidden_remainder_x
      - .offset:         92
        .size:           2
        .value_kind:     hidden_remainder_y
      - .offset:         94
        .size:           2
        .value_kind:     hidden_remainder_z
      - .offset:         112
        .size:           8
        .value_kind:     hidden_global_offset_x
      - .offset:         120
        .size:           8
        .value_kind:     hidden_global_offset_y
      - .offset:         128
        .size:           8
        .value_kind:     hidden_global_offset_z
      - .offset:         136
        .size:           2
        .value_kind:     hidden_grid_dims
    .group_segment_fixed_size: 0
    .kernarg_segment_align: 8
    .kernarg_segment_size: 328
    .language:       OpenCL C
    .language_version:
      - 2
      - 0
    .max_flat_workgroup_size: 1024
    .name:           _Z9ccc_loop1PKiS0_PKdS2_S2_S2_PdiiPi
    .private_segment_fixed_size: 0
    .sgpr_count:     12
    .sgpr_spill_count: 0
    .symbol:         _Z9ccc_loop1PKiS0_PKdS2_S2_S2_PdiiPi.kd
    .uniform_work_group_size: 1
    .uses_dynamic_stack: false
    .vgpr_count:     14
    .vgpr_spill_count: 0
    .wavefront_size: 64
  - .args:
      - .actual_access:  read_only
        .address_space:  global
        .offset:         0
        .size:           8
        .value_kind:     global_buffer
      - .actual_access:  read_only
        .address_space:  global
        .offset:         8
        .size:           8
        .value_kind:     global_buffer
      - .actual_access:  read_only
        .address_space:  global
        .offset:         16
        .size:           8
        .value_kind:     global_buffer
      - .actual_access:  write_only
        .address_space:  global
        .offset:         24
        .size:           8
        .value_kind:     global_buffer
      - .actual_access:  read_only
        .address_space:  global
        .offset:         32
        .size:           8
        .value_kind:     global_buffer
      - .offset:         40
        .size:           4
        .value_kind:     by_value
      - .actual_access:  read_only
        .address_space:  global
        .offset:         48
        .size:           8
        .value_kind:     global_buffer
      - .actual_access:  read_only
        .address_space:  global
        .offset:         56
        .size:           8
        .value_kind:     global_buffer
      - .offset:         64
        .size:           4
        .value_kind:     by_value
      - .offset:         68
        .size:           4
        .value_kind:     by_value
      - .offset:         72
        .size:           4
        .value_kind:     hidden_block_count_x
      - .offset:         76
        .size:           4
        .value_kind:     hidden_block_count_y
      - .offset:         80
        .size:           4
        .value_kind:     hidden_block_count_z
      - .offset:         84
        .size:           2
        .value_kind:     hidden_group_size_x
      - .offset:         86
        .size:           2
        .value_kind:     hidden_group_size_y
      - .offset:         88
        .size:           2
        .value_kind:     hidden_group_size_z
      - .offset:         90
        .size:           2
        .value_kind:     hidden_remainder_x
      - .offset:         92
        .size:           2
        .value_kind:     hidden_remainder_y
      - .offset:         94
        .size:           2
        .value_kind:     hidden_remainder_z
      - .offset:         112
        .size:           8
        .value_kind:     hidden_global_offset_x
      - .offset:         120
        .size:           8
        .value_kind:     hidden_global_offset_y
      - .offset:         128
        .size:           8
        .value_kind:     hidden_global_offset_z
      - .offset:         136
        .size:           2
        .value_kind:     hidden_grid_dims
    .group_segment_fixed_size: 0
    .kernarg_segment_align: 8
    .kernarg_segment_size: 328
    .language:       OpenCL C
    .language_version:
      - 2
      - 0
    .max_flat_workgroup_size: 1024
    .name:           _Z11ccc_loop1_2PKdS0_S0_PdPKiiS3_S3_ii
    .private_segment_fixed_size: 0
    .sgpr_count:     24
    .sgpr_spill_count: 0
    .symbol:         _Z11ccc_loop1_2PKdS0_S0_PdPKiiS3_S3_ii.kd
    .uniform_work_group_size: 1
    .uses_dynamic_stack: false
    .vgpr_count:     14
    .vgpr_spill_count: 0
    .wavefront_size: 64
  - .args:
      - .actual_access:  read_only
        .address_space:  global
        .offset:         0
        .size:           8
        .value_kind:     global_buffer
      - .actual_access:  read_only
        .address_space:  global
        .offset:         8
        .size:           8
        .value_kind:     global_buffer
      - .actual_access:  read_only
        .address_space:  global
        .offset:         16
        .size:           8
        .value_kind:     global_buffer
      - .actual_access:  read_only
        .address_space:  global
        .offset:         24
        .size:           8
        .value_kind:     global_buffer
      - .actual_access:  read_only
        .address_space:  global
        .offset:         32
        .size:           8
        .value_kind:     global_buffer
      - .actual_access:  read_only
        .address_space:  global
        .offset:         40
        .size:           8
        .value_kind:     global_buffer
      - .actual_access:  read_only
        .address_space:  global
        .offset:         48
        .size:           8
        .value_kind:     global_buffer
      - .actual_access:  read_only
        .address_space:  global
        .offset:         56
        .size:           8
        .value_kind:     global_buffer
      - .actual_access:  read_only
        .address_space:  global
        .offset:         64
        .size:           8
        .value_kind:     global_buffer
      - .actual_access:  write_only
        .address_space:  global
        .offset:         72
        .size:           8
        .value_kind:     global_buffer
      - .actual_access:  read_only
        .address_space:  global
        .offset:         80
        .size:           8
        .value_kind:     global_buffer
      - .offset:         88
        .size:           4
        .value_kind:     by_value
      - .offset:         92
        .size:           4
        .value_kind:     by_value
      - .actual_access:  read_only
        .address_space:  global
        .offset:         96
        .size:           8
        .value_kind:     global_buffer
      - .offset:         104
        .size:           4
        .value_kind:     hidden_block_count_x
      - .offset:         108
        .size:           4
        .value_kind:     hidden_block_count_y
      - .offset:         112
        .size:           4
        .value_kind:     hidden_block_count_z
      - .offset:         116
        .size:           2
        .value_kind:     hidden_group_size_x
      - .offset:         118
        .size:           2
        .value_kind:     hidden_group_size_y
      - .offset:         120
        .size:           2
        .value_kind:     hidden_group_size_z
      - .offset:         122
        .size:           2
        .value_kind:     hidden_remainder_x
      - .offset:         124
        .size:           2
        .value_kind:     hidden_remainder_y
      - .offset:         126
        .size:           2
        .value_kind:     hidden_remainder_z
      - .offset:         144
        .size:           8
        .value_kind:     hidden_global_offset_x
      - .offset:         152
        .size:           8
        .value_kind:     hidden_global_offset_y
      - .offset:         160
        .size:           8
        .value_kind:     hidden_global_offset_z
      - .offset:         168
        .size:           2
        .value_kind:     hidden_grid_dims
    .group_segment_fixed_size: 0
    .kernarg_segment_align: 8
    .kernarg_segment_size: 360
    .language:       OpenCL C
    .language_version:
      - 2
      - 0
    .max_flat_workgroup_size: 1024
    .name:           _Z9ccc_loop2PKiS0_S0_PKdS2_S2_S2_S2_S2_PdS3_iiPi
    .private_segment_fixed_size: 0
    .sgpr_count:     14
    .sgpr_spill_count: 0
    .symbol:         _Z9ccc_loop2PKiS0_S0_PKdS2_S2_S2_S2_S2_PdS3_iiPi.kd
    .uniform_work_group_size: 1
    .uses_dynamic_stack: false
    .vgpr_count:     8
    .vgpr_spill_count: 0
    .wavefront_size: 64
  - .args:
      - .actual_access:  read_only
        .address_space:  global
        .offset:         0
        .size:           8
        .value_kind:     global_buffer
      - .actual_access:  read_only
        .address_space:  global
        .offset:         8
        .size:           8
        .value_kind:     global_buffer
      - .actual_access:  read_only
        .address_space:  global
        .offset:         16
        .size:           8
        .value_kind:     global_buffer
      - .actual_access:  read_only
        .address_space:  global
        .offset:         24
        .size:           8
        .value_kind:     global_buffer
      - .actual_access:  read_only
        .address_space:  global
        .offset:         32
        .size:           8
        .value_kind:     global_buffer
      - .actual_access:  write_only
        .address_space:  global
        .offset:         40
        .size:           8
        .value_kind:     global_buffer
      - .actual_access:  read_only
        .address_space:  global
        .offset:         48
        .size:           8
        .value_kind:     global_buffer
      - .offset:         56
        .size:           4
        .value_kind:     by_value
      - .offset:         64
        .size:           4
        .value_kind:     hidden_block_count_x
      - .offset:         68
        .size:           4
        .value_kind:     hidden_block_count_y
      - .offset:         72
        .size:           4
        .value_kind:     hidden_block_count_z
      - .offset:         76
        .size:           2
        .value_kind:     hidden_group_size_x
      - .offset:         78
        .size:           2
        .value_kind:     hidden_group_size_y
      - .offset:         80
        .size:           2
        .value_kind:     hidden_group_size_z
      - .offset:         82
        .size:           2
        .value_kind:     hidden_remainder_x
      - .offset:         84
        .size:           2
        .value_kind:     hidden_remainder_y
      - .offset:         86
        .size:           2
        .value_kind:     hidden_remainder_z
      - .offset:         104
        .size:           8
        .value_kind:     hidden_global_offset_x
      - .offset:         112
        .size:           8
        .value_kind:     hidden_global_offset_y
      - .offset:         120
        .size:           8
        .value_kind:     hidden_global_offset_z
      - .offset:         128
        .size:           2
        .value_kind:     hidden_grid_dims
    .group_segment_fixed_size: 0
    .kernarg_segment_align: 8
    .kernarg_segment_size: 320
    .language:       OpenCL C
    .language_version:
      - 2
      - 0
    .max_flat_workgroup_size: 1024
    .name:           _Z11ccc_loop2_2PKiPKdS2_S2_S2_PdPii
    .private_segment_fixed_size: 0
    .sgpr_count:     20
    .sgpr_spill_count: 0
    .symbol:         _Z11ccc_loop2_2PKiPKdS2_S2_S2_PdPii.kd
    .uniform_work_group_size: 1
    .uses_dynamic_stack: false
    .vgpr_count:     14
    .vgpr_spill_count: 0
    .wavefront_size: 64
  - .args:
      - .actual_access:  read_only
        .address_space:  global
        .offset:         0
        .size:           8
        .value_kind:     global_buffer
      - .actual_access:  read_only
        .address_space:  global
        .offset:         8
        .size:           8
        .value_kind:     global_buffer
      - .actual_access:  read_only
        .address_space:  global
        .offset:         16
        .size:           8
        .value_kind:     global_buffer
      - .actual_access:  read_only
        .address_space:  global
        .offset:         24
        .size:           8
        .value_kind:     global_buffer
      - .actual_access:  read_only
        .address_space:  global
        .offset:         32
        .size:           8
        .value_kind:     global_buffer
      - .actual_access:  write_only
        .address_space:  global
        .offset:         40
        .size:           8
        .value_kind:     global_buffer
      - .actual_access:  write_only
        .address_space:  global
        .offset:         48
        .size:           8
        .value_kind:     global_buffer
      - .actual_access:  read_only
        .address_space:  global
        .offset:         56
        .size:           8
        .value_kind:     global_buffer
      - .actual_access:  read_only
        .address_space:  global
        .offset:         64
        .size:           8
        .value_kind:     global_buffer
      - .offset:         72
        .size:           4
        .value_kind:     by_value
      - .offset:         76
        .size:           4
        .value_kind:     by_value
      - .actual_access:  read_only
        .address_space:  global
        .offset:         80
        .size:           8
        .value_kind:     global_buffer
      - .offset:         88
        .size:           4
        .value_kind:     hidden_block_count_x
      - .offset:         92
        .size:           4
        .value_kind:     hidden_block_count_y
      - .offset:         96
        .size:           4
        .value_kind:     hidden_block_count_z
      - .offset:         100
        .size:           2
        .value_kind:     hidden_group_size_x
      - .offset:         102
        .size:           2
        .value_kind:     hidden_group_size_y
      - .offset:         104
        .size:           2
        .value_kind:     hidden_group_size_z
      - .offset:         106
        .size:           2
        .value_kind:     hidden_remainder_x
      - .offset:         108
        .size:           2
        .value_kind:     hidden_remainder_y
      - .offset:         110
        .size:           2
        .value_kind:     hidden_remainder_z
      - .offset:         128
        .size:           8
        .value_kind:     hidden_global_offset_x
      - .offset:         136
        .size:           8
        .value_kind:     hidden_global_offset_y
      - .offset:         144
        .size:           8
        .value_kind:     hidden_global_offset_z
      - .offset:         152
        .size:           2
        .value_kind:     hidden_grid_dims
    .group_segment_fixed_size: 0
    .kernarg_segment_align: 8
    .kernarg_segment_size: 344
    .language:       OpenCL C
    .language_version:
      - 2
      - 0
    .max_flat_workgroup_size: 1024
    .name:           _Z9ccc_loop3PKiS0_S0_PKdS2_PdS3_S2_S2_iiPi
    .private_segment_fixed_size: 116
    .sgpr_count:     52
    .sgpr_spill_count: 0
    .symbol:         _Z9ccc_loop3PKiS0_S0_PKdS2_PdS3_S2_S2_iiPi.kd
    .uniform_work_group_size: 1
    .uses_dynamic_stack: false
    .vgpr_count:     64
    .vgpr_spill_count: 28
    .wavefront_size: 64
amdhsa.target:   amdgcn-amd-amdhsa--gfx906
amdhsa.version:
  - 1
  - 2
...

	.end_amdgpu_metadata
